;; amdgpu-corpus repo=ROCm/rocFFT kind=compiled arch=gfx1201 opt=O3
	.text
	.amdgcn_target "amdgcn-amd-amdhsa--gfx1201"
	.amdhsa_code_object_version 6
	.protected	fft_rtc_fwd_len2028_factors_13_4_3_13_wgs_156_tpt_156_half_op_CI_CI_sbrr_dirReg ; -- Begin function fft_rtc_fwd_len2028_factors_13_4_3_13_wgs_156_tpt_156_half_op_CI_CI_sbrr_dirReg
	.globl	fft_rtc_fwd_len2028_factors_13_4_3_13_wgs_156_tpt_156_half_op_CI_CI_sbrr_dirReg
	.p2align	8
	.type	fft_rtc_fwd_len2028_factors_13_4_3_13_wgs_156_tpt_156_half_op_CI_CI_sbrr_dirReg,@function
fft_rtc_fwd_len2028_factors_13_4_3_13_wgs_156_tpt_156_half_op_CI_CI_sbrr_dirReg: ; @fft_rtc_fwd_len2028_factors_13_4_3_13_wgs_156_tpt_156_half_op_CI_CI_sbrr_dirReg
; %bb.0:
	s_clause 0x2
	s_load_b128 s[12:15], s[0:1], 0x18
	s_load_b128 s[8:11], s[0:1], 0x0
	;; [unrolled: 1-line block ×3, first 2 shown]
	v_mul_u32_u24_e32 v1, 0x1a5, v0
	v_mov_b32_e32 v7, 0
	v_mov_b32_e32 v5, 0
	;; [unrolled: 1-line block ×3, first 2 shown]
	s_wait_kmcnt 0x0
	s_load_b64 s[18:19], s[12:13], 0x0
	s_load_b64 s[16:17], s[14:15], 0x0
	v_lshrrev_b32_e32 v1, 16, v1
	v_cmp_lt_u64_e64 s2, s[10:11], 2
	s_delay_alu instid0(VALU_DEP_2) | instskip(NEXT) | instid1(VALU_DEP_2)
	v_dual_mov_b32 v10, v7 :: v_dual_add_nc_u32 v9, ttmp9, v1
	s_and_b32 vcc_lo, exec_lo, s2
	s_cbranch_vccnz .LBB0_8
; %bb.1:
	s_load_b64 s[2:3], s[0:1], 0x10
	v_mov_b32_e32 v5, 0
	v_mov_b32_e32 v6, 0
	s_delay_alu instid0(VALU_DEP_2)
	v_mov_b32_e32 v1, v5
	s_add_nc_u64 s[20:21], s[14:15], 8
	s_add_nc_u64 s[22:23], s[12:13], 8
	s_mov_b64 s[24:25], 1
	v_mov_b32_e32 v2, v6
	s_wait_kmcnt 0x0
	s_add_nc_u64 s[26:27], s[2:3], 8
	s_mov_b32 s3, 0
.LBB0_2:                                ; =>This Inner Loop Header: Depth=1
	s_load_b64 s[28:29], s[26:27], 0x0
                                        ; implicit-def: $vgpr3_vgpr4
	s_mov_b32 s2, exec_lo
	s_wait_kmcnt 0x0
	v_or_b32_e32 v8, s29, v10
	s_delay_alu instid0(VALU_DEP_1)
	v_cmpx_ne_u64_e32 0, v[7:8]
	s_wait_alu 0xfffe
	s_xor_b32 s30, exec_lo, s2
	s_cbranch_execz .LBB0_4
; %bb.3:                                ;   in Loop: Header=BB0_2 Depth=1
	s_cvt_f32_u32 s2, s28
	s_cvt_f32_u32 s31, s29
	s_sub_nc_u64 s[36:37], 0, s[28:29]
	s_wait_alu 0xfffe
	s_delay_alu instid0(SALU_CYCLE_1) | instskip(SKIP_1) | instid1(SALU_CYCLE_2)
	s_fmamk_f32 s2, s31, 0x4f800000, s2
	s_wait_alu 0xfffe
	v_s_rcp_f32 s2, s2
	s_delay_alu instid0(TRANS32_DEP_1) | instskip(SKIP_1) | instid1(SALU_CYCLE_2)
	s_mul_f32 s2, s2, 0x5f7ffffc
	s_wait_alu 0xfffe
	s_mul_f32 s31, s2, 0x2f800000
	s_wait_alu 0xfffe
	s_delay_alu instid0(SALU_CYCLE_2) | instskip(SKIP_1) | instid1(SALU_CYCLE_2)
	s_trunc_f32 s31, s31
	s_wait_alu 0xfffe
	s_fmamk_f32 s2, s31, 0xcf800000, s2
	s_cvt_u32_f32 s35, s31
	s_wait_alu 0xfffe
	s_delay_alu instid0(SALU_CYCLE_1) | instskip(SKIP_1) | instid1(SALU_CYCLE_2)
	s_cvt_u32_f32 s34, s2
	s_wait_alu 0xfffe
	s_mul_u64 s[38:39], s[36:37], s[34:35]
	s_wait_alu 0xfffe
	s_mul_hi_u32 s41, s34, s39
	s_mul_i32 s40, s34, s39
	s_mul_hi_u32 s2, s34, s38
	s_mul_i32 s33, s35, s38
	s_wait_alu 0xfffe
	s_add_nc_u64 s[40:41], s[2:3], s[40:41]
	s_mul_hi_u32 s31, s35, s38
	s_mul_hi_u32 s42, s35, s39
	s_add_co_u32 s2, s40, s33
	s_wait_alu 0xfffe
	s_add_co_ci_u32 s2, s41, s31
	s_mul_i32 s38, s35, s39
	s_add_co_ci_u32 s39, s42, 0
	s_wait_alu 0xfffe
	s_add_nc_u64 s[38:39], s[2:3], s[38:39]
	s_wait_alu 0xfffe
	v_add_co_u32 v3, s2, s34, s38
	s_delay_alu instid0(VALU_DEP_1) | instskip(SKIP_1) | instid1(VALU_DEP_1)
	s_cmp_lg_u32 s2, 0
	s_add_co_ci_u32 s35, s35, s39
	v_readfirstlane_b32 s34, v3
	s_wait_alu 0xfffe
	s_delay_alu instid0(VALU_DEP_1)
	s_mul_u64 s[36:37], s[36:37], s[34:35]
	s_wait_alu 0xfffe
	s_mul_hi_u32 s39, s34, s37
	s_mul_i32 s38, s34, s37
	s_mul_hi_u32 s2, s34, s36
	s_mul_i32 s33, s35, s36
	s_wait_alu 0xfffe
	s_add_nc_u64 s[38:39], s[2:3], s[38:39]
	s_mul_hi_u32 s31, s35, s36
	s_mul_hi_u32 s34, s35, s37
	s_wait_alu 0xfffe
	s_add_co_u32 s2, s38, s33
	s_add_co_ci_u32 s2, s39, s31
	s_mul_i32 s36, s35, s37
	s_add_co_ci_u32 s37, s34, 0
	s_wait_alu 0xfffe
	s_add_nc_u64 s[36:37], s[2:3], s[36:37]
	s_wait_alu 0xfffe
	v_add_co_u32 v8, s2, v3, s36
	s_delay_alu instid0(VALU_DEP_1) | instskip(SKIP_1) | instid1(VALU_DEP_1)
	s_cmp_lg_u32 s2, 0
	s_add_co_ci_u32 s2, s35, s37
	v_mul_hi_u32 v15, v9, v8
	s_wait_alu 0xfffe
	v_mad_co_u64_u32 v[3:4], null, v9, s2, 0
	v_mad_co_u64_u32 v[11:12], null, v10, v8, 0
	;; [unrolled: 1-line block ×3, first 2 shown]
	s_delay_alu instid0(VALU_DEP_3) | instskip(SKIP_1) | instid1(VALU_DEP_4)
	v_add_co_u32 v3, vcc_lo, v15, v3
	s_wait_alu 0xfffd
	v_add_co_ci_u32_e32 v4, vcc_lo, 0, v4, vcc_lo
	s_delay_alu instid0(VALU_DEP_2) | instskip(SKIP_1) | instid1(VALU_DEP_2)
	v_add_co_u32 v3, vcc_lo, v3, v11
	s_wait_alu 0xfffd
	v_add_co_ci_u32_e32 v3, vcc_lo, v4, v12, vcc_lo
	s_wait_alu 0xfffd
	v_add_co_ci_u32_e32 v4, vcc_lo, 0, v14, vcc_lo
	s_delay_alu instid0(VALU_DEP_2) | instskip(SKIP_1) | instid1(VALU_DEP_2)
	v_add_co_u32 v8, vcc_lo, v3, v13
	s_wait_alu 0xfffd
	v_add_co_ci_u32_e32 v11, vcc_lo, 0, v4, vcc_lo
	s_delay_alu instid0(VALU_DEP_2) | instskip(SKIP_1) | instid1(VALU_DEP_3)
	v_mul_lo_u32 v12, s29, v8
	v_mad_co_u64_u32 v[3:4], null, s28, v8, 0
	v_mul_lo_u32 v13, s28, v11
	s_delay_alu instid0(VALU_DEP_2) | instskip(NEXT) | instid1(VALU_DEP_2)
	v_sub_co_u32 v3, vcc_lo, v9, v3
	v_add3_u32 v4, v4, v13, v12
	s_delay_alu instid0(VALU_DEP_1) | instskip(SKIP_1) | instid1(VALU_DEP_1)
	v_sub_nc_u32_e32 v12, v10, v4
	s_wait_alu 0xfffd
	v_subrev_co_ci_u32_e64 v12, s2, s29, v12, vcc_lo
	v_add_co_u32 v13, s2, v8, 2
	s_wait_alu 0xf1ff
	v_add_co_ci_u32_e64 v14, s2, 0, v11, s2
	v_sub_co_u32 v15, s2, v3, s28
	v_sub_co_ci_u32_e32 v4, vcc_lo, v10, v4, vcc_lo
	s_wait_alu 0xf1ff
	v_subrev_co_ci_u32_e64 v12, s2, 0, v12, s2
	s_delay_alu instid0(VALU_DEP_3) | instskip(NEXT) | instid1(VALU_DEP_3)
	v_cmp_le_u32_e32 vcc_lo, s28, v15
	v_cmp_eq_u32_e64 s2, s29, v4
	s_wait_alu 0xfffd
	v_cndmask_b32_e64 v15, 0, -1, vcc_lo
	v_cmp_le_u32_e32 vcc_lo, s29, v12
	s_wait_alu 0xfffd
	v_cndmask_b32_e64 v16, 0, -1, vcc_lo
	v_cmp_le_u32_e32 vcc_lo, s28, v3
	;; [unrolled: 3-line block ×3, first 2 shown]
	s_wait_alu 0xfffd
	v_cndmask_b32_e64 v17, 0, -1, vcc_lo
	v_cmp_eq_u32_e32 vcc_lo, s29, v12
	s_wait_alu 0xf1ff
	s_delay_alu instid0(VALU_DEP_2)
	v_cndmask_b32_e64 v3, v17, v3, s2
	s_wait_alu 0xfffd
	v_cndmask_b32_e32 v12, v16, v15, vcc_lo
	v_add_co_u32 v15, vcc_lo, v8, 1
	s_wait_alu 0xfffd
	v_add_co_ci_u32_e32 v16, vcc_lo, 0, v11, vcc_lo
	s_delay_alu instid0(VALU_DEP_3) | instskip(SKIP_1) | instid1(VALU_DEP_2)
	v_cmp_ne_u32_e32 vcc_lo, 0, v12
	s_wait_alu 0xfffd
	v_cndmask_b32_e32 v4, v16, v14, vcc_lo
	v_cndmask_b32_e32 v12, v15, v13, vcc_lo
	v_cmp_ne_u32_e32 vcc_lo, 0, v3
	s_wait_alu 0xfffd
	s_delay_alu instid0(VALU_DEP_3) | instskip(NEXT) | instid1(VALU_DEP_3)
	v_cndmask_b32_e32 v4, v11, v4, vcc_lo
	v_cndmask_b32_e32 v3, v8, v12, vcc_lo
.LBB0_4:                                ;   in Loop: Header=BB0_2 Depth=1
	s_wait_alu 0xfffe
	s_and_not1_saveexec_b32 s2, s30
	s_cbranch_execz .LBB0_6
; %bb.5:                                ;   in Loop: Header=BB0_2 Depth=1
	v_cvt_f32_u32_e32 v3, s28
	s_sub_co_i32 s30, 0, s28
	s_delay_alu instid0(VALU_DEP_1) | instskip(NEXT) | instid1(TRANS32_DEP_1)
	v_rcp_iflag_f32_e32 v3, v3
	v_mul_f32_e32 v3, 0x4f7ffffe, v3
	s_delay_alu instid0(VALU_DEP_1) | instskip(SKIP_1) | instid1(VALU_DEP_1)
	v_cvt_u32_f32_e32 v3, v3
	s_wait_alu 0xfffe
	v_mul_lo_u32 v4, s30, v3
	s_delay_alu instid0(VALU_DEP_1) | instskip(NEXT) | instid1(VALU_DEP_1)
	v_mul_hi_u32 v4, v3, v4
	v_add_nc_u32_e32 v3, v3, v4
	s_delay_alu instid0(VALU_DEP_1) | instskip(NEXT) | instid1(VALU_DEP_1)
	v_mul_hi_u32 v3, v9, v3
	v_mul_lo_u32 v4, v3, s28
	v_add_nc_u32_e32 v8, 1, v3
	s_delay_alu instid0(VALU_DEP_2) | instskip(NEXT) | instid1(VALU_DEP_1)
	v_sub_nc_u32_e32 v4, v9, v4
	v_subrev_nc_u32_e32 v11, s28, v4
	v_cmp_le_u32_e32 vcc_lo, s28, v4
	s_wait_alu 0xfffd
	s_delay_alu instid0(VALU_DEP_2) | instskip(NEXT) | instid1(VALU_DEP_1)
	v_dual_cndmask_b32 v4, v4, v11 :: v_dual_cndmask_b32 v3, v3, v8
	v_cmp_le_u32_e32 vcc_lo, s28, v4
	s_delay_alu instid0(VALU_DEP_2) | instskip(SKIP_2) | instid1(VALU_DEP_2)
	v_add_nc_u32_e32 v8, 1, v3
	v_mov_b32_e32 v4, v7
	s_wait_alu 0xfffd
	v_cndmask_b32_e32 v3, v3, v8, vcc_lo
.LBB0_6:                                ;   in Loop: Header=BB0_2 Depth=1
	s_wait_alu 0xfffe
	s_or_b32 exec_lo, exec_lo, s2
	v_mul_lo_u32 v8, v4, s28
	s_delay_alu instid0(VALU_DEP_2)
	v_mul_lo_u32 v13, v3, s29
	s_load_b64 s[30:31], s[22:23], 0x0
	v_mad_co_u64_u32 v[11:12], null, v3, s28, 0
	s_load_b64 s[28:29], s[20:21], 0x0
	s_add_nc_u64 s[24:25], s[24:25], 1
	s_add_nc_u64 s[20:21], s[20:21], 8
	s_wait_alu 0xfffe
	v_cmp_ge_u64_e64 s2, s[24:25], s[10:11]
	s_add_nc_u64 s[22:23], s[22:23], 8
	s_add_nc_u64 s[26:27], s[26:27], 8
	v_add3_u32 v8, v12, v13, v8
	v_sub_co_u32 v9, vcc_lo, v9, v11
	s_wait_alu 0xfffd
	s_delay_alu instid0(VALU_DEP_2) | instskip(SKIP_2) | instid1(VALU_DEP_1)
	v_sub_co_ci_u32_e32 v8, vcc_lo, v10, v8, vcc_lo
	s_and_b32 vcc_lo, exec_lo, s2
	s_wait_kmcnt 0x0
	v_mul_lo_u32 v10, s30, v8
	v_mul_lo_u32 v11, s31, v9
	v_mad_co_u64_u32 v[5:6], null, s30, v9, v[5:6]
	v_mul_lo_u32 v8, s28, v8
	v_mul_lo_u32 v12, s29, v9
	v_mad_co_u64_u32 v[1:2], null, s28, v9, v[1:2]
	s_delay_alu instid0(VALU_DEP_4) | instskip(NEXT) | instid1(VALU_DEP_2)
	v_add3_u32 v6, v11, v6, v10
	v_add3_u32 v2, v12, v2, v8
	s_wait_alu 0xfffe
	s_cbranch_vccnz .LBB0_9
; %bb.7:                                ;   in Loop: Header=BB0_2 Depth=1
	v_dual_mov_b32 v10, v4 :: v_dual_mov_b32 v9, v3
	s_branch .LBB0_2
.LBB0_8:
	v_dual_mov_b32 v1, v5 :: v_dual_mov_b32 v2, v6
	s_delay_alu instid0(VALU_DEP_2)
	v_dual_mov_b32 v3, v9 :: v_dual_mov_b32 v4, v10
.LBB0_9:
	s_load_b64 s[0:1], s[0:1], 0x28
	v_mul_hi_u32 v37, 0x1a41a42, v0
	s_lshl_b64 s[10:11], s[10:11], 3
                                        ; implicit-def: $sgpr2
                                        ; implicit-def: $vgpr14
                                        ; implicit-def: $vgpr15
                                        ; implicit-def: $vgpr16
                                        ; implicit-def: $vgpr17
	s_wait_kmcnt 0x0
	v_cmp_gt_u64_e32 vcc_lo, s[0:1], v[3:4]
	v_cmp_le_u64_e64 s0, s[0:1], v[3:4]
	s_delay_alu instid0(VALU_DEP_1)
	s_and_saveexec_b32 s1, s0
	s_wait_alu 0xfffe
	s_xor_b32 s0, exec_lo, s1
; %bb.10:
	v_mul_u32_u24_e32 v5, 0x9c, v37
	s_mov_b32 s2, 0
                                        ; implicit-def: $vgpr37
	s_delay_alu instid0(VALU_DEP_1) | instskip(NEXT) | instid1(VALU_DEP_1)
	v_sub_nc_u32_e32 v14, v0, v5
                                        ; implicit-def: $vgpr0
                                        ; implicit-def: $vgpr5_vgpr6
	v_add_nc_u32_e32 v15, 0x9c, v14
	v_add_nc_u32_e32 v16, 0x138, v14
	;; [unrolled: 1-line block ×3, first 2 shown]
; %bb.11:
	s_wait_alu 0xfffe
	s_or_saveexec_b32 s1, s0
	v_mov_b32_e32 v13, s2
	v_mov_b32_e32 v29, s2
	s_add_nc_u64 s[2:3], s[14:15], s[10:11]
                                        ; implicit-def: $vgpr36
                                        ; implicit-def: $vgpr35
                                        ; implicit-def: $vgpr30
                                        ; implicit-def: $vgpr28
                                        ; implicit-def: $vgpr25
                                        ; implicit-def: $vgpr24
                                        ; implicit-def: $vgpr21
                                        ; implicit-def: $vgpr20
                                        ; implicit-def: $vgpr18
                                        ; implicit-def: $vgpr11
                                        ; implicit-def: $vgpr9
                                        ; implicit-def: $vgpr7
                                        ; implicit-def: $vgpr10
                                        ; implicit-def: $vgpr8
                                        ; implicit-def: $vgpr19
                                        ; implicit-def: $vgpr12
                                        ; implicit-def: $vgpr23
                                        ; implicit-def: $vgpr22
                                        ; implicit-def: $vgpr27
                                        ; implicit-def: $vgpr26
                                        ; implicit-def: $vgpr32
                                        ; implicit-def: $vgpr31
                                        ; implicit-def: $vgpr34
                                        ; implicit-def: $vgpr33
	s_wait_alu 0xfffe
	s_xor_b32 exec_lo, exec_lo, s1
	s_cbranch_execz .LBB0_13
; %bb.12:
	v_mul_u32_u24_e32 v7, 0x9c, v37
	s_add_nc_u64 s[10:11], s[12:13], s[10:11]
	v_lshlrev_b64_e32 v[5:6], 2, v[5:6]
	s_load_b64 s[10:11], s[10:11], 0x0
	s_delay_alu instid0(VALU_DEP_2) | instskip(NEXT) | instid1(VALU_DEP_1)
	v_sub_nc_u32_e32 v14, v0, v7
	v_mad_co_u64_u32 v[7:8], null, s18, v14, 0
	v_add_nc_u32_e32 v15, 0x9c, v14
	v_add_nc_u32_e32 v16, 0x138, v14
	;; [unrolled: 1-line block ×3, first 2 shown]
	s_delay_alu instid0(VALU_DEP_4) | instskip(NEXT) | instid1(VALU_DEP_4)
	v_dual_mov_b32 v0, v8 :: v_dual_add_nc_u32 v35, 0x618, v14
	v_mad_co_u64_u32 v[9:10], null, s18, v15, 0
	v_add_nc_u32_e32 v17, 0x1d4, v14
	v_mad_co_u64_u32 v[11:12], null, s18, v16, 0
	s_wait_kmcnt 0x0
	v_mul_lo_u32 v8, s11, v3
	v_mul_lo_u32 v25, s10, v4
	v_mad_co_u64_u32 v[20:21], null, s10, v3, 0
	v_mad_co_u64_u32 v[22:23], null, s19, v14, v[0:1]
	v_mov_b32_e32 v0, v10
	v_mad_co_u64_u32 v[18:19], null, s18, v17, 0
	v_dual_mov_b32 v10, v12 :: v_dual_add_nc_u32 v13, 0x270, v14
	v_add3_u32 v21, v21, v25, v8
	s_delay_alu instid0(VALU_DEP_4) | instskip(SKIP_2) | instid1(VALU_DEP_4)
	v_mad_co_u64_u32 v[25:26], null, s19, v15, v[0:1]
	v_mov_b32_e32 v8, v22
	v_mov_b32_e32 v12, v19
	v_lshlrev_b64_e32 v[19:20], 2, v[20:21]
	v_mad_co_u64_u32 v[23:24], null, s18, v13, 0
	s_delay_alu instid0(VALU_DEP_4) | instskip(NEXT) | instid1(VALU_DEP_4)
	v_lshlrev_b64_e32 v[29:30], 2, v[7:8]
	v_mad_co_u64_u32 v[21:22], null, s19, v17, v[12:13]
	s_delay_alu instid0(VALU_DEP_4) | instskip(SKIP_3) | instid1(VALU_DEP_3)
	v_add_co_u32 v0, s0, s4, v19
	s_wait_alu 0xf1ff
	v_add_co_ci_u32_e64 v12, s0, s5, v20, s0
	v_add_nc_u32_e32 v22, 0x30c, v14
	v_add_co_u32 v42, s0, v0, v5
	v_mov_b32_e32 v19, v21
	v_mad_co_u64_u32 v[26:27], null, s19, v16, v[10:11]
	v_mov_b32_e32 v10, v25
	v_mov_b32_e32 v0, v24
	s_wait_alu 0xf1ff
	v_add_co_ci_u32_e64 v43, s0, v12, v6, s0
	v_add_nc_u32_e32 v27, 0x3a8, v14
	v_lshlrev_b64_e32 v[7:8], 2, v[9:10]
	v_mad_co_u64_u32 v[9:10], null, s19, v13, v[0:1]
	v_mov_b32_e32 v12, v26
	v_mad_co_u64_u32 v[33:34], null, s18, v35, 0
	s_delay_alu instid0(VALU_DEP_4)
	v_add_co_u32 v5, s0, v42, v7
	s_wait_alu 0xf1ff
	v_add_co_ci_u32_e64 v6, s0, v43, v8, s0
	v_lshlrev_b64_e32 v[7:8], 2, v[11:12]
	v_mad_co_u64_u32 v[10:11], null, s18, v22, 0
	v_mov_b32_e32 v24, v9
	v_add_nc_u32_e32 v28, 0x444, v14
	v_lshlrev_b64_e32 v[12:13], 2, v[18:19]
	v_mad_co_u64_u32 v[18:19], null, s18, v27, 0
	v_add_co_u32 v7, s0, v42, v7
	v_mov_b32_e32 v0, v11
	v_mad_co_u64_u32 v[20:21], null, s18, v28, 0
	s_wait_alu 0xf1ff
	v_add_co_ci_u32_e64 v8, s0, v43, v8, s0
	s_delay_alu instid0(VALU_DEP_3)
	v_mad_co_u64_u32 v[25:26], null, s19, v22, v[0:1]
	v_mov_b32_e32 v0, v19
	v_lshlrev_b64_e32 v[22:23], 2, v[23:24]
	v_mov_b32_e32 v9, v21
	v_add_co_u32 v12, s0, v42, v12
	s_wait_alu 0xf1ff
	v_add_co_ci_u32_e64 v13, s0, v43, v13, s0
	v_mov_b32_e32 v11, v25
	v_mad_co_u64_u32 v[24:25], null, s19, v27, v[0:1]
	v_mad_co_u64_u32 v[25:26], null, s19, v28, v[9:10]
	s_delay_alu instid0(VALU_DEP_3)
	v_lshlrev_b64_e32 v[9:10], 2, v[10:11]
	v_add_co_u32 v22, s0, v42, v22
	v_add_nc_u32_e32 v27, 0x4e0, v14
	v_mov_b32_e32 v19, v24
	s_wait_alu 0xf1ff
	v_add_co_ci_u32_e64 v23, s0, v43, v23, s0
	v_mov_b32_e32 v21, v25
	v_add_co_u32 v9, s0, v42, v9
	v_lshlrev_b64_e32 v[18:19], 2, v[18:19]
	v_mad_co_u64_u32 v[25:26], null, s18, v27, 0
	s_delay_alu instid0(VALU_DEP_4)
	v_lshlrev_b64_e32 v[20:21], 2, v[20:21]
	s_wait_alu 0xf1ff
	v_add_co_ci_u32_e64 v10, s0, v43, v10, s0
	v_add_nc_u32_e32 v24, 0x57c, v14
	v_add_co_u32 v18, s0, v42, v18
	s_wait_alu 0xf1ff
	v_add_co_ci_u32_e64 v19, s0, v43, v19, s0
	v_add_co_u32 v36, s0, v42, v20
	v_mad_co_u64_u32 v[31:32], null, s18, v24, 0
	s_wait_alu 0xf1ff
	v_add_co_ci_u32_e64 v37, s0, v43, v21, s0
	v_dual_mov_b32 v0, v26 :: v_dual_add_nc_u32 v21, 0x6b4, v14
	v_mad_co_u64_u32 v[40:41], null, s18, v44, 0
	v_mov_b32_e32 v11, v34
	s_delay_alu instid0(VALU_DEP_3) | instskip(NEXT) | instid1(VALU_DEP_4)
	v_mad_co_u64_u32 v[38:39], null, s18, v21, 0
	v_mad_co_u64_u32 v[26:27], null, s19, v27, v[0:1]
	v_mov_b32_e32 v0, v32
	s_delay_alu instid0(VALU_DEP_4) | instskip(NEXT) | instid1(VALU_DEP_2)
	v_mad_co_u64_u32 v[34:35], null, s19, v35, v[11:12]
	v_mad_co_u64_u32 v[27:28], null, s19, v24, v[0:1]
	v_mov_b32_e32 v0, v39
	s_clause 0x6
	global_load_b32 v35, v[5:6], off
	global_load_b32 v28, v[7:8], off
	;; [unrolled: 1-line block ×7, first 2 shown]
	v_lshlrev_b64_e32 v[5:6], 2, v[25:26]
	v_mad_co_u64_u32 v[9:10], null, s19, v21, v[0:1]
	v_mov_b32_e32 v0, v41
	v_mov_b32_e32 v32, v27
	s_delay_alu instid0(VALU_DEP_4) | instskip(SKIP_1) | instid1(VALU_DEP_4)
	v_add_co_u32 v5, s0, v42, v5
	v_lshlrev_b64_e32 v[21:22], 2, v[33:34]
	v_mad_co_u64_u32 v[18:19], null, s19, v44, v[0:1]
	s_delay_alu instid0(VALU_DEP_4) | instskip(SKIP_3) | instid1(VALU_DEP_3)
	v_lshlrev_b64_e32 v[12:13], 2, v[31:32]
	v_mov_b32_e32 v39, v9
	s_wait_alu 0xf1ff
	v_add_co_ci_u32_e64 v6, s0, v43, v6, s0
	v_add_co_u32 v9, s0, v42, v12
	v_mov_b32_e32 v41, v18
	s_wait_alu 0xf1ff
	v_add_co_ci_u32_e64 v10, s0, v43, v13, s0
	v_lshlrev_b64_e32 v[12:13], 2, v[38:39]
	v_add_co_u32 v18, s0, v42, v21
	s_wait_alu 0xf1ff
	v_add_co_ci_u32_e64 v19, s0, v43, v22, s0
	v_lshlrev_b64_e32 v[21:22], 2, v[40:41]
	s_delay_alu instid0(VALU_DEP_4) | instskip(SKIP_3) | instid1(VALU_DEP_4)
	v_add_co_u32 v31, s0, v42, v12
	s_wait_alu 0xf1ff
	v_add_co_ci_u32_e64 v32, s0, v43, v13, s0
	v_mov_b32_e32 v13, v14
	v_add_co_u32 v33, s0, v42, v21
	s_wait_alu 0xf1ff
	v_add_co_ci_u32_e64 v34, s0, v43, v22, s0
	s_clause 0x4
	global_load_b32 v12, v[5:6], off
	global_load_b32 v22, v[9:10], off
	;; [unrolled: 1-line block ×5, first 2 shown]
	v_add_co_u32 v5, s0, v42, v29
	s_wait_alu 0xf1ff
	v_add_co_ci_u32_e64 v6, s0, v43, v30, s0
	global_load_b32 v29, v[5:6], off
	s_wait_loadcnt 0xc
	v_lshrrev_b32_e32 v36, 16, v35
	s_wait_loadcnt 0xb
	v_lshrrev_b32_e32 v30, 16, v28
	;; [unrolled: 2-line block ×12, first 2 shown]
.LBB0_13:
	s_or_b32 exec_lo, exec_lo, s1
	s_wait_loadcnt 0x0
	v_lshrrev_b32_e32 v5, 16, v29
	v_add_f16_e32 v0, v35, v29
	v_add_f16_e32 v6, v35, v33
	v_sub_f16_e32 v35, v35, v33
	v_add_f16_e32 v37, v36, v34
	v_add_f16_e32 v38, v36, v5
	v_add_f16_e32 v0, v28, v0
	v_sub_f16_e32 v36, v36, v34
	v_mul_f16_e32 v39, 0x3b15, v6
	v_mul_f16_e32 v41, 0x388b, v6
	v_add_f16_e32 v38, v30, v38
	v_add_f16_e32 v0, v24, v0
	v_mul_f16_e32 v42, 0xba95, v35
	v_mul_f16_e32 v43, 0x2fb7, v6
	;; [unrolled: 1-line block ×3, first 2 shown]
	v_add_f16_e32 v38, v25, v38
	v_add_f16_e32 v0, v20, v0
	v_mul_f16_e32 v45, 0xb5ac, v6
	v_mul_f16_e32 v46, 0xbb7b, v35
	v_add_f16_e32 v57, v28, v31
	v_add_f16_e32 v38, v21, v38
	;; [unrolled: 1-line block ×3, first 2 shown]
	v_mul_f16_e32 v40, 0xb770, v35
	v_mul_f16_e32 v47, 0xb9fd, v6
	;; [unrolled: 1-line block ×3, first 2 shown]
	v_add_f16_e32 v38, v18, v38
	v_add_f16_e32 v0, v7, v0
	v_fmamk_f16 v49, v36, 0x3770, v39
	v_fmamk_f16 v51, v36, 0x3a95, v41
	;; [unrolled: 1-line block ×3, first 2 shown]
	v_add_f16_e32 v38, v9, v38
	v_add_f16_e32 v0, v8, v0
	v_fmac_f16_e32 v41, 0xba95, v36
	v_fma_f16 v42, v37, 0x388b, -v42
	v_fmamk_f16 v53, v36, 0x3bf1, v43
	v_add_f16_e32 v38, v10, v38
	v_add_f16_e32 v0, v12, v0
	v_fmamk_f16 v54, v37, 0x2fb7, v44
	v_fmamk_f16 v55, v36, 0x3b7b, v45
	v_fmamk_f16 v56, v37, 0xb5ac, v46
	v_add_f16_e32 v38, v19, v38
	v_add_f16_e32 v0, v22, v0
	v_mul_f16_e32 v6, 0xbbc4, v6
	v_mul_f16_e32 v35, 0xb3a8, v35
	v_sub_f16_e32 v59, v30, v32
	v_add_f16_e32 v38, v23, v38
	v_add_f16_e32 v0, v26, v0
	v_mul_f16_e32 v60, 0x388b, v57
	v_sub_f16_e32 v28, v28, v31
	v_fmamk_f16 v50, v37, 0x3b15, v40
	v_add_f16_e32 v38, v27, v38
	v_add_f16_e32 v0, v31, v0
	v_fmac_f16_e32 v39, 0xb770, v36
	v_fma_f16 v40, v37, 0x3b15, -v40
	v_fmac_f16_e32 v43, 0xbbf1, v36
	v_add_f16_e32 v38, v32, v38
	v_add_f16_e32 v0, v33, v0
	v_fma_f16 v44, v37, 0x2fb7, -v44
	v_fmac_f16_e32 v45, 0xbb7b, v36
	v_add_f16_e32 v49, v49, v29
	v_add_f16_e32 v33, v34, v38
	v_and_b32_e32 v0, 0xffff, v0
	v_add_f16_e32 v34, v41, v29
	v_add_f16_e32 v38, v42, v5
	;; [unrolled: 1-line block ×3, first 2 shown]
	v_lshlrev_b32_e32 v33, 16, v33
	v_add_f16_e32 v42, v54, v5
	v_add_f16_e32 v53, v55, v29
	v_fmamk_f16 v54, v36, 0x394e, v47
	v_fmamk_f16 v55, v37, 0xb9fd, v48
	v_or_b32_e32 v0, v33, v0
	v_fma_f16 v33, v37, 0xb5ac, -v46
	v_add_f16_e32 v46, v56, v5
	v_fmac_f16_e32 v47, 0xb94e, v36
	v_fma_f16 v48, v37, 0xb9fd, -v48
	v_fmamk_f16 v56, v36, 0x33a8, v6
	v_fmamk_f16 v58, v37, 0xbbc4, v35
	v_fmac_f16_e32 v6, 0xb3a8, v36
	v_fma_f16 v31, v37, 0xbbc4, -v35
	v_add_f16_e32 v30, v30, v32
	v_fmamk_f16 v32, v59, 0x3a95, v60
	v_mul_f16_e32 v35, 0xba95, v28
	v_add_f16_e32 v50, v50, v5
	v_add_f16_e32 v39, v39, v29
	v_add_f16_e32 v40, v40, v5
	v_add_f16_e32 v51, v51, v29
	v_add_f16_e32 v52, v52, v5
	v_add_f16_e32 v43, v43, v29
	v_add_f16_e32 v44, v44, v5
	v_add_f16_e32 v45, v45, v29
	v_add_f16_e32 v33, v33, v5
	v_add_f16_e32 v54, v54, v29
	v_add_f16_e32 v55, v55, v5
	v_add_f16_e32 v47, v47, v29
	v_add_f16_e32 v48, v48, v5
	v_add_f16_e32 v56, v56, v29
	v_add_f16_e32 v36, v58, v5
	v_add_f16_e32 v6, v6, v29
	v_add_f16_e32 v5, v31, v5
	v_add_f16_e32 v29, v32, v49
	v_fmamk_f16 v31, v30, 0x388b, v35
	v_mul_f16_e32 v32, 0xb5ac, v57
	v_fma_f16 v35, v30, 0x388b, -v35
	v_mul_f16_e32 v37, 0xbb7b, v28
	v_mul_f16_e32 v58, 0x394e, v28
	v_add_f16_e32 v31, v31, v50
	v_fmamk_f16 v49, v59, 0x3b7b, v32
	v_add_f16_e32 v35, v35, v40
	v_fmamk_f16 v40, v30, 0xb5ac, v37
	v_mul_f16_e32 v50, 0xbbc4, v57
	v_fmac_f16_e32 v32, 0xbb7b, v59
	v_fma_f16 v37, v30, 0xb5ac, -v37
	v_add_f16_e32 v49, v49, v51
	v_add_f16_e32 v40, v40, v52
	v_fmamk_f16 v51, v59, 0x33a8, v50
	v_mul_f16_e32 v52, 0xb3a8, v28
	v_add_f16_e32 v32, v32, v34
	v_add_f16_e32 v34, v37, v38
	v_mul_f16_e32 v37, 0xb9fd, v57
	v_add_f16_e32 v38, v51, v41
	v_fmamk_f16 v41, v30, 0xbbc4, v52
	v_fmac_f16_e32 v50, 0xb3a8, v59
	v_fma_f16 v51, v30, 0xbbc4, -v52
	v_fmamk_f16 v52, v59, 0xb94e, v37
	v_fmac_f16_e32 v37, 0x394e, v59
	v_add_f16_e32 v41, v41, v42
	v_add_f16_e32 v42, v50, v43
	;; [unrolled: 1-line block ×4, first 2 shown]
	v_fmamk_f16 v50, v30, 0xb9fd, v58
	v_mul_f16_e32 v51, 0x2fb7, v57
	v_fma_f16 v53, v30, 0xb9fd, -v58
	v_mul_f16_e32 v52, 0x3bf1, v28
	v_add_f16_e32 v37, v37, v45
	v_add_f16_e32 v46, v50, v46
	v_fmamk_f16 v50, v59, 0xbbf1, v51
	v_add_f16_e32 v33, v53, v33
	v_mul_f16_e32 v53, 0x3b15, v57
	v_fmac_f16_e32 v51, 0x3bf1, v59
	v_fmamk_f16 v45, v30, 0x2fb7, v52
	v_add_f16_e32 v50, v50, v54
	v_fma_f16 v52, v30, 0x2fb7, -v52
	v_fmamk_f16 v54, v59, 0xb770, v53
	v_add_f16_e32 v47, v51, v47
	v_add_f16_e32 v51, v24, v26
	v_add_f16_e32 v45, v45, v55
	v_mul_f16_e32 v28, 0x3770, v28
	v_add_f16_e32 v48, v52, v48
	v_add_f16_e32 v52, v54, v56
	v_sub_f16_e32 v55, v25, v27
	v_mul_f16_e32 v56, 0x2fb7, v51
	v_sub_f16_e32 v24, v24, v26
	v_fmamk_f16 v54, v30, 0x3b15, v28
	v_fma_f16 v26, v30, 0x3b15, -v28
	v_add_f16_e32 v25, v25, v27
	v_fmamk_f16 v27, v55, 0x3bf1, v56
	v_mul_f16_e32 v28, 0xbbf1, v24
	v_fmac_f16_e32 v53, 0x3770, v59
	v_add_f16_e32 v30, v54, v36
	v_add_f16_e32 v5, v26, v5
	;; [unrolled: 1-line block ×3, first 2 shown]
	v_fmamk_f16 v27, v25, 0x2fb7, v28
	v_mul_f16_e32 v29, 0xbbc4, v51
	v_fma_f16 v28, v25, 0x2fb7, -v28
	v_mul_f16_e32 v36, 0xb3a8, v24
	v_add_f16_e32 v6, v53, v6
	v_add_f16_e32 v27, v27, v31
	v_fmamk_f16 v31, v55, 0x33a8, v29
	v_add_f16_e32 v28, v28, v35
	v_fmamk_f16 v35, v25, 0xbbc4, v36
	v_mul_f16_e32 v53, 0xb5ac, v51
	v_fmac_f16_e32 v29, 0xb3a8, v55
	v_fma_f16 v36, v25, 0xbbc4, -v36
	v_add_f16_e32 v31, v31, v49
	v_add_f16_e32 v35, v35, v40
	v_fmamk_f16 v40, v55, 0xbb7b, v53
	v_mul_f16_e32 v49, 0x3b7b, v24
	v_add_f16_e32 v29, v29, v32
	v_add_f16_e32 v32, v36, v34
	v_mul_f16_e32 v34, 0x3b15, v51
	v_add_f16_e32 v36, v40, v38
	v_fmamk_f16 v38, v25, 0xb5ac, v49
	v_fmac_f16_e32 v53, 0x3b7b, v55
	v_fma_f16 v40, v25, 0xb5ac, -v49
	v_fmamk_f16 v49, v55, 0xb770, v34
	v_mul_f16_e32 v54, 0x3770, v24
	v_add_f16_e32 v38, v38, v41
	v_add_f16_e32 v41, v53, v42
	;; [unrolled: 1-line block ×4, first 2 shown]
	v_fmamk_f16 v43, v25, 0x3b15, v54
	v_mul_f16_e32 v44, 0x388b, v51
	v_fmac_f16_e32 v34, 0x3770, v55
	v_mul_f16_e32 v49, 0xba95, v24
	v_mul_f16_e32 v51, 0xb9fd, v51
	v_add_f16_e32 v43, v43, v46
	v_fmamk_f16 v46, v55, 0x3a95, v44
	v_add_f16_e32 v34, v34, v37
	v_fmamk_f16 v37, v25, 0x388b, v49
	v_fmac_f16_e32 v44, 0xba95, v55
	v_mul_f16_e32 v24, 0xb94e, v24
	v_add_f16_e32 v46, v46, v50
	v_sub_f16_e32 v50, v21, v23
	v_add_f16_e32 v37, v37, v45
	v_fma_f16 v45, v25, 0x388b, -v49
	v_fmamk_f16 v49, v55, 0x394e, v51
	v_add_f16_e32 v44, v44, v47
	v_add_f16_e32 v47, v20, v22
	v_sub_f16_e32 v20, v20, v22
	v_add_f16_e32 v45, v45, v48
	v_add_f16_e32 v48, v49, v52
	v_fmamk_f16 v49, v25, 0xb9fd, v24
	v_mul_f16_e32 v52, 0xb5ac, v47
	v_fma_f16 v22, v25, 0xb9fd, -v24
	v_add_f16_e32 v21, v21, v23
	v_mul_f16_e32 v24, 0xbb7b, v20
	v_fma_f16 v53, v25, 0x3b15, -v54
	v_fmamk_f16 v23, v50, 0x3b7b, v52
	v_add_f16_e32 v25, v49, v30
	v_add_f16_e32 v5, v22, v5
	v_mul_f16_e32 v30, 0x394e, v20
	v_mul_f16_e32 v49, 0x3b15, v47
	v_add_f16_e32 v22, v23, v26
	v_fmamk_f16 v23, v21, 0xb5ac, v24
	v_mul_f16_e32 v26, 0xb9fd, v47
	v_fma_f16 v24, v21, 0xb5ac, -v24
	v_fmac_f16_e32 v51, 0xb94e, v55
	v_fmac_f16_e32 v60, 0xba95, v59
	v_add_f16_e32 v23, v23, v27
	v_fmamk_f16 v27, v50, 0xb94e, v26
	v_add_f16_e32 v24, v24, v28
	v_fmamk_f16 v28, v21, 0xb9fd, v30
	v_fmac_f16_e32 v26, 0x394e, v50
	v_fma_f16 v30, v21, 0xb9fd, -v30
	v_add_f16_e32 v27, v27, v31
	v_fmamk_f16 v31, v50, 0xb770, v49
	v_add_f16_e32 v28, v28, v35
	v_mul_f16_e32 v35, 0x3770, v20
	v_add_f16_e32 v26, v26, v29
	v_add_f16_e32 v29, v30, v32
	v_mul_f16_e32 v30, 0x2fb7, v47
	v_add_f16_e32 v6, v51, v6
	v_add_f16_e32 v31, v31, v36
	v_fmamk_f16 v32, v21, 0x3b15, v35
	v_fmac_f16_e32 v49, 0x3770, v50
	v_fma_f16 v35, v21, 0x3b15, -v35
	v_fmamk_f16 v36, v50, 0x3bf1, v30
	v_mul_f16_e32 v51, 0xbbf1, v20
	v_add_f16_e32 v32, v32, v38
	v_add_f16_e32 v38, v49, v41
	;; [unrolled: 1-line block ×4, first 2 shown]
	v_fmamk_f16 v40, v21, 0x2fb7, v51
	v_mul_f16_e32 v41, 0xbbc4, v47
	v_fmac_f16_e32 v30, 0xbbf1, v50
	v_mul_f16_e32 v42, 0x33a8, v20
	v_mul_f16_e32 v47, 0x388b, v47
	v_add_f16_e32 v40, v40, v43
	v_fmamk_f16 v43, v50, 0xb3a8, v41
	v_add_f16_e32 v30, v30, v34
	v_fmamk_f16 v34, v21, 0xbbc4, v42
	v_fmac_f16_e32 v41, 0x33a8, v50
	v_mul_f16_e32 v20, 0x3a95, v20
	v_add_f16_e32 v43, v43, v46
	v_sub_f16_e32 v46, v18, v19
	v_add_f16_e32 v34, v34, v37
	v_fma_f16 v37, v21, 0xbbc4, -v42
	v_fmamk_f16 v42, v50, 0xba95, v47
	v_add_f16_e32 v41, v41, v44
	v_add_f16_e32 v44, v11, v12
	v_sub_f16_e32 v11, v11, v12
	v_add_f16_e32 v37, v37, v45
	v_add_f16_e32 v42, v42, v48
	v_fmamk_f16 v45, v21, 0x388b, v20
	v_mul_f16_e32 v48, 0xb9fd, v44
	v_fma_f16 v12, v21, 0x388b, -v20
	v_add_f16_e32 v18, v18, v19
	v_mul_f16_e32 v20, 0xb94e, v11
	v_fma_f16 v49, v21, 0x2fb7, -v51
	v_fmamk_f16 v19, v46, 0x394e, v48
	v_add_f16_e32 v21, v45, v25
	v_add_f16_e32 v5, v12, v5
	v_mul_f16_e32 v25, 0x3bf1, v11
	v_mul_f16_e32 v45, 0x388b, v44
	v_add_f16_e32 v12, v19, v22
	v_fmamk_f16 v19, v18, 0xb9fd, v20
	v_mul_f16_e32 v22, 0x2fb7, v44
	v_fma_f16 v20, v18, 0xb9fd, -v20
	v_fmac_f16_e32 v47, 0x3a95, v50
	v_add_f16_e32 v39, v60, v39
	v_add_f16_e32 v19, v19, v23
	v_fmamk_f16 v23, v46, 0xbbf1, v22
	v_add_f16_e32 v20, v20, v24
	v_fmamk_f16 v24, v18, 0x2fb7, v25
	v_fmac_f16_e32 v22, 0x3bf1, v46
	v_fma_f16 v25, v18, 0x2fb7, -v25
	v_add_f16_e32 v23, v23, v27
	v_fmamk_f16 v27, v46, 0x3a95, v45
	v_add_f16_e32 v24, v24, v28
	v_mul_f16_e32 v28, 0xba95, v11
	v_add_f16_e32 v26, v22, v26
	v_mul_f16_e32 v22, 0xbbc4, v44
	v_add_f16_e32 v6, v47, v6
	v_add_f16_e32 v25, v25, v29
	;; [unrolled: 1-line block ×3, first 2 shown]
	v_fmamk_f16 v29, v18, 0x388b, v28
	v_fmac_f16_e32 v45, 0xba95, v46
	v_fma_f16 v28, v18, 0x388b, -v28
	v_fmamk_f16 v31, v46, 0xb3a8, v22
	v_mul_f16_e32 v47, 0x33a8, v11
	v_add_f16_e32 v29, v29, v32
	v_add_f16_e32 v32, v45, v38
	;; [unrolled: 1-line block ×4, first 2 shown]
	v_fmamk_f16 v35, v18, 0xbbc4, v47
	v_mul_f16_e32 v36, 0x3b15, v44
	v_fmac_f16_e32 v22, 0x33a8, v46
	v_mul_f16_e32 v38, 0x3770, v11
	v_mul_f16_e32 v44, 0xb5ac, v44
	v_add_f16_e32 v35, v35, v40
	v_fmamk_f16 v40, v46, 0xb770, v36
	v_add_f16_e32 v30, v22, v30
	v_fmamk_f16 v22, v18, 0x3b15, v38
	v_fmac_f16_e32 v36, 0x3770, v46
	v_mul_f16_e32 v11, 0xbb7b, v11
	v_add_f16_e32 v40, v40, v43
	v_fmac_f16_e32 v56, 0xbbf1, v55
	v_add_f16_e32 v34, v22, v34
	v_fma_f16 v22, v18, 0x3b15, -v38
	v_fmamk_f16 v38, v46, 0x3b7b, v44
	v_add_f16_e32 v36, v36, v41
	v_add_f16_e32 v41, v7, v8
	v_sub_f16_e32 v7, v7, v8
	v_add_f16_e32 v37, v22, v37
	v_add_f16_e32 v38, v38, v42
	v_sub_f16_e32 v42, v9, v10
	v_mul_f16_e32 v43, 0xbbc4, v41
	v_fmamk_f16 v22, v18, 0xb5ac, v11
	v_fma_f16 v8, v18, 0xb5ac, -v11
	v_add_f16_e32 v9, v9, v10
	v_mul_f16_e32 v11, 0xb3a8, v7
	v_fmamk_f16 v10, v42, 0x33a8, v43
	v_add_f16_e32 v39, v56, v39
	v_fmac_f16_e32 v52, 0xbb7b, v50
	v_fmac_f16_e32 v44, 0xbb7b, v46
	v_add_f16_e32 v5, v8, v5
	v_add_f16_e32 v8, v10, v12
	v_fmamk_f16 v10, v9, 0xbbc4, v11
	v_mul_f16_e32 v12, 0x3b15, v41
	v_add_f16_e32 v39, v52, v39
	v_fmac_f16_e32 v48, 0xb94e, v46
	v_add_f16_e32 v6, v44, v6
	v_fma_f16 v11, v9, 0xbbc4, -v11
	v_mul_f16_e32 v44, 0x3770, v7
	v_add_f16_e32 v10, v10, v19
	v_fmamk_f16 v19, v42, 0xb770, v12
	v_add_f16_e32 v39, v48, v39
	v_fma_f16 v45, v18, 0xbbc4, -v47
	v_add_f16_e32 v18, v22, v21
	v_fmac_f16_e32 v43, 0xb3a8, v42
	v_add_f16_e32 v22, v11, v20
	v_fmamk_f16 v11, v9, 0x3b15, v44
	v_mul_f16_e32 v20, 0xb9fd, v41
	v_add_f16_e32 v19, v19, v23
	v_fma_f16 v23, v9, 0x3b15, -v44
	v_add_f16_e32 v21, v43, v39
	v_fmac_f16_e32 v12, 0x3770, v42
	v_add_f16_e32 v11, v11, v24
	v_fmamk_f16 v24, v42, 0x394e, v20
	v_mul_f16_e32 v39, 0xb94e, v7
	v_add_f16_e32 v23, v23, v25
	v_mul_f16_e32 v25, 0x388b, v41
	v_add_f16_e32 v33, v53, v33
	v_add_f16_e32 v12, v12, v26
	;; [unrolled: 1-line block ×3, first 2 shown]
	v_fmamk_f16 v26, v9, 0xb9fd, v39
	v_fma_f16 v27, v9, 0xb9fd, -v39
	v_fmamk_f16 v39, v42, 0xba95, v25
	v_mul_f16_e32 v43, 0x3a95, v7
	v_add_f16_e32 v33, v49, v33
	v_fmac_f16_e32 v20, 0xb94e, v42
	v_add_f16_e32 v26, v26, v29
	v_add_f16_e32 v27, v27, v28
	;; [unrolled: 1-line block ×3, first 2 shown]
	v_fmamk_f16 v29, v9, 0x388b, v43
	v_mul_f16_e32 v31, 0xb5ac, v41
	v_add_f16_e32 v33, v45, v33
	v_add_f16_e32 v20, v20, v32
	v_fmac_f16_e32 v25, 0x3a95, v42
	v_fma_f16 v32, v9, 0x388b, -v43
	v_mul_f16_e32 v39, 0xbb7b, v7
	v_add_f16_e32 v29, v29, v35
	v_fmamk_f16 v35, v42, 0x3b7b, v31
	v_add_f16_e32 v25, v25, v30
	v_add_f16_e32 v30, v32, v33
	v_fmamk_f16 v32, v9, 0xb5ac, v39
	v_fmac_f16_e32 v31, 0xbb7b, v42
	v_add_f16_e32 v33, v35, v40
	v_mul_f16_e32 v35, 0x2fb7, v41
	v_mul_f16_e32 v7, 0x3bf1, v7
	v_add_f16_e32 v32, v32, v34
	v_add_f16_e32 v31, v31, v36
	v_fma_f16 v34, v9, 0xb5ac, -v39
	v_fmamk_f16 v36, v42, 0xbbf1, v35
	v_fmamk_f16 v39, v9, 0x2fb7, v7
	v_fmac_f16_e32 v35, 0x3bf1, v42
	v_fma_f16 v7, v9, 0x2fb7, -v7
	v_add_f16_e32 v9, v34, v37
	v_add_f16_e32 v34, v36, v38
	;; [unrolled: 1-line block ×4, first 2 shown]
	v_mad_u32_u24 v35, v14, 52, 0
	v_add_f16_e32 v5, v7, v5
	v_pack_b32_f16 v7, v19, v11
	v_pack_b32_f16 v8, v8, v10
	;; [unrolled: 1-line block ×6, first 2 shown]
	s_load_b64 s[2:3], s[2:3], 0x0
	ds_store_b32 v35, v0
	ds_store_2addr_b32 v35, v8, v7 offset0:1 offset1:2
	ds_store_2addr_b32 v35, v11, v10 offset0:3 offset1:4
	ds_store_2addr_b32 v35, v19, v18 offset0:5 offset1:6
	v_mad_i32_i24 v18, 0xffffffd0, v14, v35
	v_pack_b32_f16 v9, v31, v9
	v_pack_b32_f16 v5, v6, v5
	;; [unrolled: 1-line block ×4, first 2 shown]
	v_add_nc_u32_e32 v0, 0x700, v18
	v_pack_b32_f16 v24, v21, v22
	v_pack_b32_f16 v12, v12, v23
	ds_store_2addr_b32 v35, v5, v9 offset0:7 offset1:8
	ds_store_2addr_b32 v35, v20, v6 offset0:9 offset1:10
	;; [unrolled: 1-line block ×3, first 2 shown]
	global_wb scope:SCOPE_SE
	s_wait_dscnt 0x0
	s_wait_kmcnt 0x0
	s_barrier_signal -1
	s_barrier_wait -1
	global_inv scope:SCOPE_SE
	v_add_nc_u32_e32 v5, 0xc00, v18
	ds_load_2addr_b32 v[7:8], v0 offset0:59 offset1:215
	v_lshl_add_u32 v0, v15, 2, 0
	v_add_nc_u32_e32 v9, 0x1700, v18
	v_add_nc_u32_e32 v10, 0x1200, v18
	v_lshl_add_u32 v19, v16, 2, 0
	ds_load_2addr_b32 v[5:6], v5 offset0:51 offset1:246
	ds_load_2addr_b32 v[11:12], v9 offset0:49 offset1:205
	ds_load_b32 v24, v0
	ds_load_2addr_b32 v[9:10], v10 offset0:18 offset1:174
	ds_load_b32 v26, v18 offset:7332
	ds_load_b32 v25, v18
	ds_load_b32 v23, v19
	v_mul_i32_i24_e32 v18, 0xffffffd0, v14
	v_cmp_gt_u32_e64 s0, 39, v14
	v_lshl_add_u32 v20, v17, 2, 0
                                        ; implicit-def: $vgpr33
                                        ; implicit-def: $vgpr27
                                        ; implicit-def: $vgpr32
                                        ; implicit-def: $vgpr36
                                        ; implicit-def: $vgpr34
	s_delay_alu instid0(VALU_DEP_3) | instskip(NEXT) | instid1(VALU_DEP_3)
	v_add_nc_u32_e32 v18, v35, v18
                                        ; implicit-def: $vgpr35
	s_and_saveexec_b32 s1, s0
	s_cbranch_execz .LBB0_15
; %bb.14:
	ds_load_b32 v21, v20
	ds_load_b32 v27, v18 offset:3900
	ds_load_b32 v32, v18 offset:5928
	;; [unrolled: 1-line block ×3, first 2 shown]
	s_wait_dscnt 0x3
	v_lshrrev_b32_e32 v22, 16, v21
	s_wait_dscnt 0x2
	v_lshrrev_b32_e32 v33, 16, v27
	s_wait_dscnt 0x1
	v_lshrrev_b32_e32 v35, 16, v32
	s_wait_dscnt 0x0
	v_lshrrev_b32_e32 v36, 16, v34
.LBB0_15:
	s_wait_alu 0xfffe
	s_or_b32 exec_lo, exec_lo, s1
	v_and_b32_e32 v28, 0xff, v14
	v_and_b32_e32 v29, 0xffff, v15
	;; [unrolled: 1-line block ×3, first 2 shown]
	s_wait_dscnt 0x7
	v_lshrrev_b32_e32 v61, 16, v7
	s_wait_dscnt 0x6
	v_lshrrev_b32_e32 v62, 16, v6
	v_mul_lo_u16 v28, 0x4f, v28
	v_mul_u32_u24_e32 v30, 0x4ec5, v29
	v_and_b32_e32 v29, 0xffff, v17
	v_mul_u32_u24_e32 v31, 0x4ec5, v31
	s_wait_dscnt 0x5
	v_lshrrev_b32_e32 v63, 16, v11
	v_lshrrev_b16 v51, 10, v28
	v_lshrrev_b32_e32 v52, 18, v30
	v_mul_u32_u24_e32 v29, 0x4ec5, v29
	v_lshrrev_b32_e32 v53, 18, v31
	v_lshrrev_b32_e32 v64, 16, v8
	v_mul_lo_u16 v38, v51, 13
	v_mul_lo_u16 v39, v52, 13
	v_lshrrev_b32_e32 v37, 18, v29
	v_mul_lo_u16 v40, v53, 13
	v_and_b32_e32 v51, 0xffff, v51
	v_sub_nc_u16 v38, v14, v38
	v_sub_nc_u16 v39, v15, v39
	v_mul_lo_u16 v41, v37, 13
	v_mul_u32_u24_e32 v52, 0xd0, v52
	v_mul_u32_u24_e32 v53, 0xd0, v53
	v_and_b32_e32 v54, 0xff, v38
	v_sub_nc_u16 v38, v16, v40
	v_and_b32_e32 v55, 0xffff, v39
	v_sub_nc_u16 v39, v17, v41
	v_mul_u32_u24_e32 v51, 0xd0, v51
	v_mul_u32_u24_e32 v40, 3, v54
	v_and_b32_e32 v56, 0xffff, v38
	v_mul_u32_u24_e32 v41, 3, v55
	v_and_b32_e32 v38, 0xffff, v39
	v_lshlrev_b32_e32 v54, 2, v54
	v_lshlrev_b32_e32 v39, 2, v40
	v_mul_u32_u24_e32 v42, 3, v56
	v_lshlrev_b32_e32 v43, 2, v41
	v_mul_u32_u24_e32 v45, 3, v38
	v_lshlrev_b32_e32 v55, 2, v55
	global_load_b96 v[39:41], v39, s[8:9]
	v_lshlrev_b32_e32 v46, 2, v42
	global_load_b96 v[42:44], v43, s[8:9]
	v_lshlrev_b32_e32 v48, 2, v45
	v_lshlrev_b32_e32 v56, 2, v56
	s_clause 0x1
	global_load_b96 v[45:47], v46, s[8:9]
	global_load_b96 v[48:50], v48, s[8:9]
	v_add3_u32 v51, 0, v51, v54
	v_add3_u32 v52, 0, v52, v55
	;; [unrolled: 1-line block ×3, first 2 shown]
	s_wait_dscnt 0x3
	v_lshrrev_b32_e32 v65, 16, v9
	v_lshrrev_b32_e32 v66, 16, v12
	s_wait_dscnt 0x2
	v_lshrrev_b32_e32 v60, 16, v26
	v_lshrrev_b32_e32 v67, 16, v5
	;; [unrolled: 1-line block ×3, first 2 shown]
	s_wait_dscnt 0x1
	v_lshrrev_b32_e32 v57, 16, v25
	v_lshrrev_b32_e32 v58, 16, v24
	s_wait_dscnt 0x0
	v_lshrrev_b32_e32 v59, 16, v23
	global_wb scope:SCOPE_SE
	s_wait_loadcnt 0x0
	s_barrier_signal -1
	s_barrier_wait -1
	global_inv scope:SCOPE_SE
	v_lshrrev_b32_e32 v54, 16, v39
	v_lshrrev_b32_e32 v55, 16, v40
	;; [unrolled: 1-line block ×12, first 2 shown]
	v_mul_f16_e32 v78, v54, v61
	v_mul_f16_e32 v54, v54, v7
	v_mul_f16_e32 v79, v55, v62
	v_mul_f16_e32 v55, v55, v6
	v_mul_f16_e32 v80, v56, v63
	v_mul_f16_e32 v56, v56, v11
	v_mul_f16_e32 v81, v69, v64
	v_mul_f16_e32 v69, v69, v8
	v_mul_f16_e32 v82, v70, v65
	v_mul_f16_e32 v70, v70, v9
	v_mul_f16_e32 v83, v71, v66
	v_mul_f16_e32 v71, v71, v12
	v_mul_f16_e32 v84, v72, v67
	v_mul_f16_e32 v72, v72, v5
	v_mul_f16_e32 v85, v73, v68
	v_mul_f16_e32 v73, v73, v10
	v_mul_f16_e32 v86, v60, v74
	v_mul_f16_e32 v74, v26, v74
	v_mul_f16_e32 v87, v33, v75
	v_mul_f16_e32 v75, v27, v75
	v_mul_f16_e32 v88, v35, v76
	v_mul_f16_e32 v76, v32, v76
	v_mul_f16_e32 v89, v36, v77
	v_mul_f16_e32 v77, v34, v77
	v_fma_f16 v7, v39, v7, -v78
	v_fmac_f16_e32 v54, v39, v61
	v_fma_f16 v6, v40, v6, -v79
	v_fmac_f16_e32 v55, v40, v62
	;; [unrolled: 2-line block ×12, first 2 shown]
	v_sub_f16_e32 v34, v25, v6
	v_sub_f16_e32 v35, v57, v55
	;; [unrolled: 1-line block ×16, first 2 shown]
	v_fma_f16 v44, v25, 2.0, -v34
	v_fma_f16 v45, v57, 2.0, -v35
	;; [unrolled: 1-line block ×12, first 2 shown]
	v_add_f16_e32 v55, v40, v26
	v_fma_f16 v21, v21, 2.0, -v32
	v_fma_f16 v56, v22, 2.0, -v42
	;; [unrolled: 1-line block ×4, first 2 shown]
	v_sub_f16_e32 v11, v34, v11
	v_add_f16_e32 v46, v35, v6
	v_sub_f16_e32 v39, v9, v39
	v_add_f16_e32 v12, v36, v12
	v_sub_f16_e32 v41, v10, v41
	v_sub_f16_e32 v5, v32, v43
	v_add_f16_e32 v6, v42, v33
	v_sub_f16_e32 v7, v44, v7
	v_sub_f16_e32 v33, v45, v25
	;; [unrolled: 1-line block ×8, first 2 shown]
	v_fma_f16 v34, v34, 2.0, -v11
	v_fma_f16 v35, v35, 2.0, -v46
	;; [unrolled: 1-line block ×6, first 2 shown]
	v_pack_b32_f16 v12, v39, v12
	v_pack_b32_f16 v32, v41, v55
	v_fma_f16 v39, v44, 2.0, -v7
	v_fma_f16 v41, v45, 2.0, -v33
	;; [unrolled: 1-line block ×6, first 2 shown]
	v_pack_b32_f16 v11, v11, v46
	v_fma_f16 v45, v49, 2.0, -v48
	v_fma_f16 v46, v50, 2.0, -v54
	;; [unrolled: 1-line block ×4, first 2 shown]
	v_pack_b32_f16 v7, v7, v33
	v_pack_b32_f16 v21, v34, v35
	;; [unrolled: 1-line block ×9, first 2 shown]
	ds_store_2addr_b32 v51, v7, v11 offset0:26 offset1:39
	ds_store_2addr_b32 v51, v33, v21 offset1:13
	ds_store_2addr_b32 v52, v34, v9 offset1:13
	ds_store_2addr_b32 v52, v8, v12 offset0:26 offset1:39
	ds_store_2addr_b32 v53, v36, v10 offset1:13
	ds_store_2addr_b32 v53, v35, v32 offset0:26 offset1:39
	s_and_saveexec_b32 s1, s0
	s_cbranch_execz .LBB0_17
; %bb.16:
	v_mul_lo_u16 v7, v37, 52
	v_lshlrev_b32_e32 v8, 2, v38
	v_perm_b32 v9, v24, v22, 0x5040100
	v_perm_b32 v10, v27, v23, 0x5040100
	;; [unrolled: 1-line block ×3, first 2 shown]
	v_and_b32_e32 v7, 0xffff, v7
	v_perm_b32 v5, v6, v5, 0x5040100
	s_delay_alu instid0(VALU_DEP_2) | instskip(NEXT) | instid1(VALU_DEP_1)
	v_lshlrev_b32_e32 v7, 2, v7
	v_add3_u32 v7, 0, v8, v7
	ds_store_2addr_b32 v7, v9, v10 offset1:13
	ds_store_2addr_b32 v7, v11, v5 offset0:26 offset1:39
.LBB0_17:
	s_wait_alu 0xfffe
	s_or_b32 exec_lo, exec_lo, s1
	v_add_nc_u32_e32 v5, 0xa00, v18
	v_add_nc_u32_e32 v6, 0x1400, v18
	;; [unrolled: 1-line block ×4, first 2 shown]
	global_wb scope:SCOPE_SE
	s_wait_dscnt 0x0
	s_barrier_signal -1
	s_barrier_wait -1
	global_inv scope:SCOPE_SE
	ds_load_2addr_b32 v[7:8], v5 offset0:36 offset1:192
	ds_load_2addr_b32 v[5:6], v6 offset0:72 offset1:228
	ds_load_b32 v32, v0
	ds_load_b32 v33, v20
	;; [unrolled: 1-line block ×4, first 2 shown]
	ds_load_2addr_b32 v[11:12], v9 offset0:92 offset1:248
	ds_load_2addr_b32 v[9:10], v10 offset1:156
	v_cmp_gt_u32_e64 s0, 52, v14
	v_lshl_add_u32 v21, v14, 2, 0
	s_delay_alu instid0(VALU_DEP_2)
	s_and_saveexec_b32 s1, s0
	s_cbranch_execz .LBB0_19
; %bb.18:
	ds_load_b32 v22, v21 offset:2496
	ds_load_b32 v23, v18 offset:5200
	;; [unrolled: 1-line block ×3, first 2 shown]
	s_wait_dscnt 0x2
	v_lshrrev_b32_e32 v24, 16, v22
	s_wait_dscnt 0x1
	v_lshrrev_b32_e32 v27, 16, v23
	;; [unrolled: 2-line block ×3, first 2 shown]
.LBB0_19:
	s_wait_alu 0xfffe
	s_or_b32 exec_lo, exec_lo, s1
	v_lshrrev_b16 v38, 12, v28
	v_lshrrev_b32_e32 v39, 20, v30
	v_lshrrev_b32_e32 v40, 20, v31
	;; [unrolled: 1-line block ×3, first 2 shown]
	s_wait_dscnt 0x7
	v_lshrrev_b32_e32 v50, 16, v7
	v_mul_lo_u16 v28, v38, 52
	v_mul_lo_u16 v29, v39, 52
	;; [unrolled: 1-line block ×4, first 2 shown]
	v_and_b32_e32 v38, 0xffff, v38
	v_sub_nc_u16 v28, v14, v28
	v_sub_nc_u16 v15, v15, v29
	v_sub_nc_u16 v16, v16, v30
	v_sub_nc_u16 v17, v17, v31
	v_mul_u32_u24_e32 v41, 0x270, v41
	v_and_b32_e32 v42, 0xff, v28
	v_and_b32_e32 v43, 0xffff, v15
	;; [unrolled: 1-line block ×4, first 2 shown]
	v_mul_u32_u24_e32 v38, 0x270, v38
	v_lshlrev_b32_e32 v15, 3, v42
	v_lshlrev_b32_e32 v28, 3, v43
	;; [unrolled: 1-line block ×5, first 2 shown]
	s_clause 0x3
	global_load_b64 v[15:16], v15, s[8:9] offset:156
	global_load_b64 v[28:29], v28, s[8:9] offset:156
	;; [unrolled: 1-line block ×4, first 2 shown]
	v_lshlrev_b32_e32 v17, 2, v17
	v_mul_u32_u24_e32 v39, 0x270, v39
	v_mul_u32_u24_e32 v40, 0x270, v40
	v_lshlrev_b32_e32 v43, 2, v43
	v_lshlrev_b32_e32 v44, 2, v44
	s_wait_dscnt 0x6
	v_lshrrev_b32_e32 v51, 16, v5
	v_add3_u32 v38, 0, v38, v42
	v_add3_u32 v17, 0, v41, v17
	v_lshrrev_b32_e32 v52, 16, v8
	v_lshrrev_b32_e32 v53, 16, v6
	v_add3_u32 v39, 0, v39, v43
	v_add3_u32 v40, 0, v40, v44
	s_wait_dscnt 0x1
	v_lshrrev_b32_e32 v54, 16, v11
	s_wait_dscnt 0x0
	v_lshrrev_b32_e32 v55, 16, v9
	v_lshrrev_b32_e32 v49, 16, v10
	;; [unrolled: 1-line block ×7, first 2 shown]
	global_wb scope:SCOPE_SE
	s_wait_loadcnt 0x0
	s_barrier_signal -1
	s_barrier_wait -1
	global_inv scope:SCOPE_SE
	v_lshrrev_b32_e32 v43, 16, v28
	v_lshrrev_b32_e32 v41, 16, v15
	;; [unrolled: 1-line block ×8, first 2 shown]
	v_mul_f16_e32 v61, v41, v50
	v_mul_f16_e32 v41, v41, v7
	;; [unrolled: 1-line block ×16, first 2 shown]
	v_fma_f16 v7, v15, v7, -v61
	v_fmac_f16_e32 v41, v15, v50
	v_fma_f16 v5, v16, v5, -v62
	v_fmac_f16_e32 v42, v16, v51
	;; [unrolled: 2-line block ×8, first 2 shown]
	v_add_f16_e32 v16, v7, v5
	v_add_f16_e32 v30, v41, v42
	v_sub_f16_e32 v28, v41, v42
	v_add_f16_e32 v29, v45, v41
	v_add_f16_e32 v36, v8, v6
	v_sub_f16_e32 v37, v43, v44
	v_add_f16_e32 v41, v46, v43
	v_add_f16_e32 v43, v43, v44
	;; [unrolled: 1-line block ×5, first 2 shown]
	v_sub_f16_e32 v7, v7, v5
	v_add_f16_e32 v31, v32, v8
	v_sub_f16_e32 v51, v57, v58
	v_add_f16_e32 v52, v47, v57
	v_add_f16_e32 v55, v12, v10
	v_sub_f16_e32 v56, v59, v60
	v_add_f16_e32 v57, v48, v59
	v_add_f16_e32 v59, v59, v60
	v_fmac_f16_e32 v35, -0.5, v16
	v_fmac_f16_e32 v45, -0.5, v30
	v_sub_f16_e32 v8, v8, v6
	v_fmac_f16_e32 v32, -0.5, v36
	v_fmac_f16_e32 v46, -0.5, v43
	v_add_f16_e32 v49, v34, v11
	v_sub_f16_e32 v11, v11, v9
	v_fmac_f16_e32 v34, -0.5, v50
	v_fmac_f16_e32 v47, -0.5, v53
	v_add_f16_e32 v54, v33, v12
	v_sub_f16_e32 v12, v12, v10
	v_add_f16_e32 v5, v15, v5
	v_add_f16_e32 v15, v29, v42
	;; [unrolled: 1-line block ×3, first 2 shown]
	v_fmac_f16_e32 v33, -0.5, v55
	v_fmac_f16_e32 v48, -0.5, v59
	v_fmamk_f16 v31, v28, 0x3aee, v35
	v_fmac_f16_e32 v35, 0xbaee, v28
	v_fmamk_f16 v28, v7, 0xbaee, v45
	v_fmac_f16_e32 v45, 0x3aee, v7
	v_add_f16_e32 v16, v41, v44
	v_fmamk_f16 v7, v37, 0x3aee, v32
	v_fmamk_f16 v36, v8, 0xbaee, v46
	v_fmac_f16_e32 v32, 0xbaee, v37
	v_fmac_f16_e32 v46, 0x3aee, v8
	v_add_f16_e32 v9, v49, v9
	v_add_f16_e32 v29, v52, v58
	v_fmamk_f16 v8, v51, 0x3aee, v34
	v_fmamk_f16 v37, v11, 0xbaee, v47
	v_add_f16_e32 v10, v54, v10
	v_add_f16_e32 v30, v57, v60
	v_fmac_f16_e32 v34, 0xbaee, v51
	v_fmac_f16_e32 v47, 0x3aee, v11
	v_fmamk_f16 v11, v56, 0x3aee, v33
	v_fmac_f16_e32 v33, 0xbaee, v56
	v_fmamk_f16 v41, v12, 0xbaee, v48
	v_fmac_f16_e32 v48, 0x3aee, v12
	v_pack_b32_f16 v5, v5, v15
	v_pack_b32_f16 v12, v31, v28
	;; [unrolled: 1-line block ×12, first 2 shown]
	ds_store_2addr_b32 v38, v5, v12 offset1:52
	ds_store_b32 v38, v15 offset:416
	ds_store_2addr_b32 v39, v6, v7 offset1:52
	ds_store_b32 v39, v16 offset:416
	;; [unrolled: 2-line block ×4, first 2 shown]
	s_and_saveexec_b32 s1, s0
	s_cbranch_execz .LBB0_21
; %bb.20:
	v_add_nc_u32_e32 v5, 0x270, v14
	s_delay_alu instid0(VALU_DEP_1) | instskip(NEXT) | instid1(VALU_DEP_1)
	v_and_b32_e32 v6, 0xffff, v5
	v_mul_u32_u24_e32 v6, 0x4ec5, v6
	s_delay_alu instid0(VALU_DEP_1) | instskip(NEXT) | instid1(VALU_DEP_1)
	v_lshrrev_b32_e32 v6, 20, v6
	v_mul_lo_u16 v6, v6, 52
	s_delay_alu instid0(VALU_DEP_1) | instskip(NEXT) | instid1(VALU_DEP_1)
	v_sub_nc_u16 v5, v5, v6
	v_and_b32_e32 v7, 0xffff, v5
	s_delay_alu instid0(VALU_DEP_1)
	v_lshlrev_b32_e32 v5, 3, v7
	v_lshl_add_u32 v7, v7, 2, 0
	global_load_b64 v[5:6], v5, s[8:9] offset:156
	s_wait_loadcnt 0x0
	v_lshrrev_b32_e32 v8, 16, v5
	v_lshrrev_b32_e32 v9, 16, v6
	s_delay_alu instid0(VALU_DEP_2) | instskip(NEXT) | instid1(VALU_DEP_2)
	v_mul_f16_e32 v10, v27, v8
	v_mul_f16_e32 v11, v26, v9
	v_mul_f16_e32 v8, v23, v8
	v_mul_f16_e32 v9, v25, v9
	s_delay_alu instid0(VALU_DEP_4) | instskip(NEXT) | instid1(VALU_DEP_4)
	v_fma_f16 v10, v23, v5, -v10
	v_fma_f16 v11, v25, v6, -v11
	s_delay_alu instid0(VALU_DEP_4) | instskip(NEXT) | instid1(VALU_DEP_4)
	v_fmac_f16_e32 v8, v27, v5
	v_fmac_f16_e32 v9, v26, v6
	s_delay_alu instid0(VALU_DEP_3) | instskip(SKIP_1) | instid1(VALU_DEP_3)
	v_add_f16_e32 v12, v10, v11
	v_sub_f16_e32 v5, v10, v11
	v_add_f16_e32 v6, v8, v9
	v_sub_f16_e32 v15, v8, v9
	v_add_f16_e32 v8, v24, v8
	v_add_f16_e32 v10, v22, v10
	v_fma_f16 v12, -0.5, v12, v22
	v_fma_f16 v6, -0.5, v6, v24
	s_delay_alu instid0(VALU_DEP_4) | instskip(NEXT) | instid1(VALU_DEP_4)
	v_add_f16_e32 v8, v8, v9
	v_add_f16_e32 v9, v10, v11
	s_delay_alu instid0(VALU_DEP_4) | instskip(NEXT) | instid1(VALU_DEP_4)
	v_fmamk_f16 v11, v15, 0xbaee, v12
	v_fmamk_f16 v10, v5, 0x3aee, v6
	v_fmac_f16_e32 v6, 0xbaee, v5
	v_fmac_f16_e32 v12, 0x3aee, v15
	v_add_nc_u32_e32 v5, 0x1c00, v7
	v_pack_b32_f16 v8, v9, v8
	v_pack_b32_f16 v9, v11, v10
	s_delay_alu instid0(VALU_DEP_4)
	v_pack_b32_f16 v6, v12, v6
	ds_store_2addr_b32 v5, v8, v6 offset0:80 offset1:132
	ds_store_b32 v7, v9 offset:7904
.LBB0_21:
	s_wait_alu 0xfffe
	s_or_b32 exec_lo, exec_lo, s1
	global_wb scope:SCOPE_SE
	s_wait_dscnt 0x0
	s_barrier_signal -1
	s_barrier_wait -1
	global_inv scope:SCOPE_SE
	s_and_saveexec_b32 s0, vcc_lo
	s_cbranch_execz .LBB0_23
; %bb.22:
	v_mul_u32_u24_e32 v5, 12, v14
	v_add_nc_u32_e32 v7, 0x1a00, v18
	v_add_nc_u32_e32 v8, 0x1000, v18
	;; [unrolled: 1-line block ×3, first 2 shown]
	v_mul_lo_u32 v6, s3, v3
	v_lshlrev_b32_e32 v5, 2, v5
	v_lshlrev_b64_e32 v[1:2], 2, v[1:2]
	s_clause 0x2
	global_load_b128 v[22:25], v5, s[8:9] offset:604
	global_load_b128 v[34:37], v5, s[8:9] offset:572
	;; [unrolled: 1-line block ×3, first 2 shown]
	ds_load_b32 v5, v18
	ds_load_b32 v11, v0
	;; [unrolled: 1-line block ×4, first 2 shown]
	ds_load_b32 v46, v21 offset:2496
	ds_load_2addr_b32 v[20:21], v7 offset0:52 offset1:208
	v_add_nc_u32_e32 v0, 0x1500, v18
	ds_load_2addr_b32 v[26:27], v0 offset0:60 offset1:216
	ds_load_2addr_b32 v[42:43], v8 offset0:68 offset1:224
	;; [unrolled: 1-line block ×3, first 2 shown]
	v_mul_lo_u32 v7, s2, v4
	v_mad_co_u64_u32 v[3:4], null, s2, v3, 0
	s_delay_alu instid0(VALU_DEP_1)
	v_add3_u32 v4, v4, v7, v6
	s_wait_dscnt 0x7
	v_lshrrev_b32_e32 v29, 16, v11
	s_wait_dscnt 0x6
	v_lshrrev_b32_e32 v30, 16, v28
	s_wait_dscnt 0x4
	v_lshrrev_b32_e32 v33, 16, v46
	s_wait_dscnt 0x3
	v_lshrrev_b32_e32 v47, 16, v21
	v_lshrrev_b32_e32 v48, 16, v20
	v_lshrrev_b32_e32 v32, 16, v31
	;; [unrolled: 1-line block ×3, first 2 shown]
	s_wait_dscnt 0x2
	v_lshrrev_b32_e32 v49, 16, v27
	v_lshrrev_b32_e32 v50, 16, v26
	s_wait_dscnt 0x1
	v_lshrrev_b32_e32 v51, 16, v43
	s_wait_dscnt 0x0
	v_lshrrev_b32_e32 v52, 16, v44
	v_lshrrev_b32_e32 v53, 16, v42
	;; [unrolled: 1-line block ×3, first 2 shown]
	v_lshlrev_b64_e32 v[3:4], 2, v[3:4]
	s_wait_loadcnt 0x2
	v_lshrrev_b32_e32 v58, 16, v25
	v_mul_f16_e32 v0, v25, v47
	s_wait_loadcnt 0x1
	v_lshrrev_b32_e32 v59, 16, v34
	v_mul_f16_e32 v19, v34, v29
	v_lshrrev_b32_e32 v56, 16, v23
	v_lshrrev_b32_e32 v57, 16, v24
	;; [unrolled: 1-line block ×4, first 2 shown]
	v_mul_f16_e32 v6, v24, v48
	v_mul_f16_e32 v18, v35, v30
	;; [unrolled: 1-line block ×3, first 2 shown]
	v_fmac_f16_e32 v0, v58, v21
	v_fmac_f16_e32 v19, v59, v11
	v_mul_f16_e32 v29, v59, v29
	v_mul_f16_e32 v47, v58, v47
	v_lshrrev_b32_e32 v55, 16, v22
	v_lshrrev_b32_e32 v61, 16, v36
	v_mul_f16_e32 v9, v22, v50
	v_mul_f16_e32 v15, v37, v33
	s_wait_loadcnt 0x0
	v_lshrrev_b32_e32 v63, 16, v38
	v_lshrrev_b32_e32 v65, 16, v40
	;; [unrolled: 1-line block ×3, first 2 shown]
	v_fmac_f16_e32 v6, v57, v20
	v_fmac_f16_e32 v18, v60, v28
	v_mul_f16_e32 v58, v60, v30
	v_mul_f16_e32 v48, v57, v48
	v_fmac_f16_e32 v7, v56, v27
	v_mul_f16_e32 v49, v56, v49
	v_mul_f16_e32 v56, v62, v33
	v_add_f16_e32 v33, v0, v19
	v_fma_f16 v30, v34, v11, -v29
	v_fma_f16 v11, v21, v25, -v47
	v_lshrrev_b32_e32 v64, 16, v39
	v_mul_f16_e32 v10, v41, v51
	v_mul_f16_e32 v16, v38, v52
	;; [unrolled: 1-line block ×4, first 2 shown]
	v_fmac_f16_e32 v9, v55, v26
	v_mul_f16_e32 v50, v55, v50
	v_mul_f16_e32 v52, v63, v52
	;; [unrolled: 1-line block ×4, first 2 shown]
	v_add_f16_e32 v34, v6, v18
	v_fma_f16 v29, v35, v28, -v58
	v_fma_f16 v20, v20, v24, -v48
	;; [unrolled: 1-line block ×3, first 2 shown]
	v_sub_f16_e32 v35, v19, v0
	v_mul_f16_e32 v48, 0x3b15, v33
	v_sub_f16_e32 v49, v30, v11
	v_mul_f16_e32 v55, 0x388b, v33
	v_mul_f16_e32 v17, v36, v32
	;; [unrolled: 1-line block ×4, first 2 shown]
	v_fma_f16 v28, v36, v31, -v57
	v_fma_f16 v27, v37, v46, -v56
	;; [unrolled: 1-line block ×6, first 2 shown]
	v_sub_f16_e32 v36, v18, v6
	v_mul_f16_e32 v40, 0x388b, v34
	v_sub_f16_e32 v50, v29, v20
	v_add_f16_e32 v51, v11, v30
	v_mul_f16_e32 v52, 0xb770, v35
	v_mul_f16_e32 v56, 0xb5ac, v34
	;; [unrolled: 1-line block ×4, first 2 shown]
	v_fmamk_f16 v102, v49, 0x3770, v48
	v_fmamk_f16 v106, v49, 0x3a95, v55
	v_fma_f16 v25, v45, v39, -v54
	v_add_f16_e32 v53, v20, v29
	v_mul_f16_e32 v54, 0xba95, v36
	v_mul_f16_e32 v59, 0xbb7b, v36
	;; [unrolled: 1-line block ×5, first 2 shown]
	v_fmamk_f16 v103, v50, 0x3a95, v40
	v_fmamk_f16 v104, v51, 0x3b15, v52
	;; [unrolled: 1-line block ×4, first 2 shown]
	v_add_f16_e32 v102, v102, v8
	v_fmamk_f16 v114, v49, 0x3b7b, v67
	v_add_f16_e32 v106, v106, v8
	v_fmac_f16_e32 v17, v61, v31
	v_mul_f16_e32 v61, 0x2fb7, v33
	v_mul_f16_e32 v71, 0x394e, v36
	;; [unrolled: 1-line block ×4, first 2 shown]
	v_fmamk_f16 v105, v53, 0x388b, v54
	v_fmamk_f16 v109, v53, 0xb5ac, v59
	v_add_f16_e32 v104, v104, v5
	v_fmamk_f16 v115, v50, 0xb94e, v68
	v_add_f16_e32 v102, v102, v103
	;; [unrolled: 2-line block ×3, first 2 shown]
	v_add_f16_e32 v106, v106, v107
	v_fmamk_f16 v107, v49, 0x394e, v72
	v_add_f16_e32 v114, v114, v8
	v_fmac_f16_e32 v15, v62, v46
	v_fmac_f16_e32 v14, v64, v45
	v_mul_f16_e32 v62, 0xbbc4, v34
	v_mul_f16_e32 v64, 0xbbf1, v35
	;; [unrolled: 1-line block ×5, first 2 shown]
	v_add_f16_e32 v104, v104, v105
	v_fmamk_f16 v105, v53, 0xb9fd, v71
	v_add_f16_e32 v108, v108, v109
	v_fmamk_f16 v109, v50, 0xbbf1, v73
	v_add_f16_e32 v103, v103, v5
	v_add_f16_e32 v114, v114, v115
	v_fmamk_f16 v115, v49, 0x33a8, v33
	v_add_f16_e32 v107, v107, v8
	v_fmac_f16_e32 v33, 0xb3a8, v49
	v_fmac_f16_e32 v12, v65, v42
	v_add_f16_e32 v32, v7, v17
	v_mul_f16_e32 v65, 0xb3a8, v36
	v_mul_f16_e32 v75, 0x3bf1, v36
	;; [unrolled: 1-line block ×3, first 2 shown]
	v_add_f16_e32 v103, v103, v105
	v_fmamk_f16 v105, v50, 0xb770, v34
	v_add_f16_e32 v107, v107, v109
	v_fmamk_f16 v109, v51, 0xbbc4, v35
	v_fmac_f16_e32 v34, 0x3770, v50
	v_add_f16_e32 v33, v33, v8
	v_fma_f16 v35, v51, 0xbbc4, -v35
	v_mul_f16_e32 v39, 0x2fb7, v32
	v_sub_f16_e32 v41, v28, v21
	v_fmamk_f16 v110, v49, 0x3bf1, v61
	v_add_f16_e32 v33, v33, v34
	v_fma_f16 v34, v53, 0x3b15, -v36
	v_add_f16_e32 v35, v35, v5
	v_fmac_f16_e32 v16, v63, v44
	v_sub_f16_e32 v37, v17, v7
	v_mul_f16_e32 v63, 0xb5ac, v32
	v_fmamk_f16 v111, v50, 0x33a8, v62
	v_fmamk_f16 v112, v51, 0x2fb7, v64
	v_add_f16_e32 v110, v110, v8
	v_add_f16_e32 v34, v35, v34
	v_fmamk_f16 v35, v41, 0x3bf1, v39
	v_add_f16_e32 v42, v21, v28
	v_mul_f16_e32 v60, 0xb3a8, v37
	v_mul_f16_e32 v77, 0x388b, v32
	v_fmamk_f16 v113, v53, 0xbbc4, v65
	v_add_f16_e32 v112, v112, v5
	v_add_f16_e32 v110, v110, v111
	;; [unrolled: 1-line block ×3, first 2 shown]
	v_fmac_f16_e32 v72, 0xb94e, v49
	v_add_f16_e32 v35, v102, v35
	v_fmamk_f16 v102, v41, 0xbb7b, v63
	v_fmac_f16_e32 v10, v66, v43
	v_add_f16_e32 v31, v9, v15
	v_mul_f16_e32 v43, 0xbbf1, v37
	v_mul_f16_e32 v66, 0x3b7b, v37
	;; [unrolled: 1-line block ×5, first 2 shown]
	v_fmamk_f16 v111, v51, 0xb9fd, v74
	v_add_f16_e32 v112, v112, v113
	v_fmamk_f16 v113, v53, 0x2fb7, v75
	v_add_f16_e32 v105, v115, v105
	v_fmamk_f16 v115, v53, 0x3b15, v36
	v_fma_f16 v36, v51, 0xb9fd, -v74
	v_fmac_f16_e32 v73, 0x3bf1, v50
	v_add_f16_e32 v72, v72, v8
	v_fma_f16 v74, v53, 0x2fb7, -v75
	v_fmamk_f16 v75, v42, 0xbbc4, v60
	v_add_f16_e32 v102, v110, v102
	v_fmamk_f16 v110, v41, 0x3a95, v77
	v_sub_f16_e32 v38, v15, v9
	v_mul_f16_e32 v57, 0xbbc4, v32
	v_mul_f16_e32 v69, 0x3b15, v32
	;; [unrolled: 1-line block ×4, first 2 shown]
	v_sub_f16_e32 v80, v27, v22
	v_add_f16_e32 v36, v36, v5
	v_add_f16_e32 v72, v72, v73
	v_fmamk_f16 v73, v42, 0x2fb7, v43
	v_add_f16_e32 v75, v108, v75
	v_fmamk_f16 v108, v42, 0x3b15, v76
	;; [unrolled: 2-line block ×3, first 2 shown]
	v_fma_f16 v37, v42, 0xb9fd, -v37
	v_add_f16_e32 v81, v22, v27
	v_mul_f16_e32 v82, 0xbb7b, v38
	v_mul_f16_e32 v84, 0x394e, v38
	;; [unrolled: 1-line block ×3, first 2 shown]
	v_add_f16_e32 v36, v36, v74
	v_fmamk_f16 v74, v41, 0x33a8, v57
	v_add_f16_e32 v73, v104, v73
	v_fmamk_f16 v104, v42, 0xb5ac, v66
	;; [unrolled: 2-line block ×3, first 2 shown]
	v_fmac_f16_e32 v32, 0xb94e, v41
	v_fmac_f16_e32 v77, 0xba95, v41
	v_add_f16_e32 v34, v34, v37
	v_fmamk_f16 v37, v80, 0x3b7b, v79
	v_mul_f16_e32 v83, 0xb9fd, v31
	v_mul_f16_e32 v85, 0x3b15, v31
	;; [unrolled: 1-line block ×5, first 2 shown]
	v_add_f16_e32 v74, v106, v74
	v_fmamk_f16 v106, v41, 0xb770, v69
	v_add_f16_e32 v104, v112, v104
	v_fmamk_f16 v112, v42, 0x388b, v78
	v_add_f16_e32 v32, v33, v32
	v_fma_f16 v33, v42, 0x388b, -v78
	v_add_f16_e32 v72, v72, v77
	v_fmamk_f16 v77, v81, 0xb5ac, v82
	v_add_f16_e32 v35, v35, v37
	v_fmamk_f16 v37, v81, 0xb9fd, v84
	v_fmamk_f16 v78, v81, 0x2fb7, v88
	v_add_f16_e32 v44, v10, v16
	v_sub_f16_e32 v45, v16, v10
	v_mul_f16_e32 v86, 0x3770, v38
	v_mul_f16_e32 v90, 0x33a8, v38
	;; [unrolled: 1-line block ×3, first 2 shown]
	v_add_f16_e32 v106, v114, v106
	v_add_f16_e32 v33, v36, v33
	v_fmamk_f16 v36, v80, 0xb94e, v83
	v_add_f16_e32 v73, v73, v77
	v_fmamk_f16 v77, v80, 0xb770, v85
	;; [unrolled: 2-line block ×4, first 2 shown]
	v_fmac_f16_e32 v31, 0x3a95, v80
	v_mul_f16_e32 v91, 0xb9fd, v44
	v_sub_f16_e32 v92, v26, v23
	v_add_f16_e32 v93, v23, v26
	v_mul_f16_e32 v94, 0xb94e, v45
	v_mul_f16_e32 v95, 0x2fb7, v44
	v_add_f16_e32 v36, v74, v36
	v_fmamk_f16 v74, v81, 0x3b15, v86
	v_add_f16_e32 v77, v102, v77
	v_fmamk_f16 v102, v80, 0xb3a8, v89
	;; [unrolled: 2-line block ×3, first 2 shown]
	v_fma_f16 v38, v81, 0x388b, -v38
	v_fmac_f16_e32 v89, 0x33a8, v80
	v_add_f16_e32 v31, v32, v31
	v_fma_f16 v32, v81, 0xbbc4, -v90
	v_mul_f16_e32 v97, 0x388b, v44
	v_mul_f16_e32 v98, 0xba95, v45
	v_add_f16_e32 v109, v109, v5
	v_add_f16_e32 v74, v104, v74
	v_fmamk_f16 v104, v81, 0xbbc4, v90
	v_add_f16_e32 v34, v34, v38
	v_fmamk_f16 v38, v92, 0x394e, v91
	v_add_f16_e32 v72, v72, v89
	v_fmamk_f16 v89, v93, 0xb9fd, v94
	v_add_f16_e32 v90, v33, v32
	v_fmamk_f16 v32, v92, 0xbbf1, v95
	v_mul_f16_e32 v100, 0x33a8, v45
	v_mul_f16_e32 v101, 0x3b15, v44
	v_add_f16_e32 v111, v111, v5
	v_add_f16_e32 v109, v109, v115
	;; [unrolled: 1-line block ×4, first 2 shown]
	v_fmamk_f16 v73, v92, 0x3a95, v97
	v_add_f16_e32 v36, v36, v32
	v_fmamk_f16 v32, v93, 0x388b, v98
	v_add_f16_e32 v46, v12, v14
	v_sub_f16_e32 v47, v14, v12
	v_mul_f16_e32 v96, 0x3bf1, v45
	v_mul_f16_e32 v99, 0xbbc4, v44
	v_add_f16_e32 v111, v111, v113
	v_mul_f16_e32 v113, 0x3770, v45
	v_mul_f16_e32 v44, 0xb5ac, v44
	;; [unrolled: 1-line block ×3, first 2 shown]
	v_add_f16_e32 v105, v105, v108
	v_add_f16_e32 v109, v109, v110
	;; [unrolled: 1-line block ×4, first 2 shown]
	v_fmamk_f16 v77, v93, 0xbbc4, v100
	v_add_f16_e32 v74, v74, v32
	v_fmamk_f16 v32, v92, 0xb770, v101
	v_mul_f16_e32 v115, 0xbbc4, v46
	v_sub_f16_e32 v116, v25, v24
	v_add_f16_e32 v111, v111, v112
	v_add_f16_e32 v112, v24, v25
	v_mul_f16_e32 v108, 0xb3a8, v47
	v_add_f16_e32 v103, v105, v103
	v_add_f16_e32 v106, v109, v106
	v_fmamk_f16 v35, v93, 0x2fb7, v96
	v_add_f16_e32 v77, v78, v77
	v_fmamk_f16 v78, v92, 0x3b7b, v44
	;; [unrolled: 2-line block ×3, first 2 shown]
	v_add_f16_e32 v30, v30, v5
	v_mul_f16_e32 v109, 0x388b, v46
	v_add_f16_e32 v35, v37, v35
	v_fmamk_f16 v37, v92, 0xb3a8, v99
	v_add_f16_e32 v78, v103, v78
	v_fmac_f16_e32 v44, 0xbb7b, v92
	v_add_f16_e32 v103, v106, v32
	v_fmamk_f16 v32, v116, 0x33a8, v115
	v_fmamk_f16 v106, v112, 0xbbc4, v108
	v_add_f16_e32 v29, v30, v29
	v_add_f16_e32 v19, v19, v8
	v_mul_f16_e32 v110, 0x3b15, v46
	v_mul_f16_e32 v107, 0xb9fd, v46
	v_add_f16_e32 v37, v75, v37
	v_mul_f16_e32 v102, 0xb5ac, v46
	v_mul_f16_e32 v46, 0x2fb7, v46
	v_add_f16_e32 v44, v31, v44
	v_add_f16_e32 v31, v33, v32
	;; [unrolled: 1-line block ×3, first 2 shown]
	v_fmamk_f16 v106, v116, 0xba95, v109
	v_add_f16_e32 v28, v29, v28
	v_add_f16_e32 v18, v19, v18
	v_fmac_f16_e32 v61, 0xbbf1, v49
	v_fmac_f16_e32 v67, 0xbb7b, v49
	v_add_f16_e32 v37, v37, v106
	v_fmamk_f16 v106, v116, 0xbbf1, v46
	v_fmac_f16_e32 v46, 0x3bf1, v116
	v_add_f16_e32 v19, v28, v27
	v_add_f16_e32 v17, v18, v17
	;; [unrolled: 1-line block ×3, first 2 shown]
	v_fmac_f16_e32 v62, 0xb3a8, v50
	v_add_f16_e32 v44, v44, v46
	v_fma_f16 v46, v51, 0xb5ac, -v70
	v_fma_f16 v64, v51, 0x2fb7, -v64
	v_fmac_f16_e32 v55, 0xba95, v49
	v_fma_f16 v58, v51, 0x388b, -v58
	v_fmac_f16_e32 v48, 0xb770, v49
	v_fma_f16 v49, v51, 0x3b15, -v52
	v_add_f16_e32 v19, v19, v26
	v_add_f16_e32 v15, v17, v15
	;; [unrolled: 1-line block ×7, first 2 shown]
	v_fma_f16 v18, v53, 0x388b, -v54
	v_add_f16_e32 v17, v19, v25
	v_add_f16_e32 v15, v15, v16
	;; [unrolled: 1-line block ×5, first 2 shown]
	v_fmac_f16_e32 v40, 0xba95, v50
	v_add_f16_e32 v5, v5, v18
	v_fma_f16 v18, v42, 0x2fb7, -v43
	v_add_f16_e32 v16, v24, v17
	v_add_f16_e32 v14, v15, v14
	;; [unrolled: 1-line block ×3, first 2 shown]
	v_fmac_f16_e32 v39, 0xbbf1, v41
	v_add_f16_e32 v5, v5, v18
	v_fma_f16 v17, v81, 0xb5ac, -v82
	v_add_f16_e32 v15, v23, v16
	v_add_f16_e32 v12, v12, v14
	;; [unrolled: 1-line block ×3, first 2 shown]
	v_fmac_f16_e32 v79, 0xbb7b, v80
	v_add_f16_e32 v5, v5, v17
	v_add_f16_e32 v17, v22, v15
	v_mad_co_u64_u32 v[14:15], null, s16, v13, 0
	v_add_f16_e32 v10, v10, v12
	v_add_f16_e32 v8, v8, v79
	v_fmac_f16_e32 v91, 0xb94e, v92
	v_fma_f16 v16, v93, 0xb9fd, -v94
	v_fmac_f16_e32 v63, 0x3b7b, v41
	v_add_f16_e32 v9, v9, v10
	v_fma_f16 v10, v112, 0xbbc4, -v108
	v_add_f16_e32 v12, v8, v91
	v_add_f16_e32 v8, v21, v17
	;; [unrolled: 1-line block ×3, first 2 shown]
	v_mov_b32_e32 v5, v15
	v_add_nc_u32_e32 v17, 0x9c, v13
	v_add_f16_e32 v18, v7, v9
	v_add_f16_e32 v15, v20, v8
	;; [unrolled: 1-line block ×3, first 2 shown]
	v_mad_co_u64_u32 v[7:8], null, s17, v13, v[5:6]
	v_mad_co_u64_u32 v[8:9], null, s16, v17, 0
	v_add_f16_e32 v5, v6, v18
	v_add_co_u32 v6, vcc_lo, s6, v3
	v_add_f16_e32 v11, v11, v15
	v_mov_b32_e32 v15, v7
	s_delay_alu instid0(VALU_DEP_4)
	v_add_f16_e32 v16, v0, v5
	v_mov_b32_e32 v0, v9
	s_wait_alu 0xfffd
	v_add_co_ci_u32_e32 v7, vcc_lo, s7, v4, vcc_lo
	v_fma_f16 v64, v53, 0xbbc4, -v65
	v_add_f16_e32 v61, v61, v63
	v_mad_co_u64_u32 v[3:4], null, s17, v17, v[0:1]
	v_add_nc_u32_e32 v18, 0x138, v13
	s_delay_alu instid0(VALU_DEP_4)
	v_add_f16_e32 v62, v62, v64
	v_fma_f16 v63, v42, 0xb5ac, -v66
	v_fmac_f16_e32 v56, 0xbb7b, v50
	v_add_nc_u32_e32 v20, 0x1d4, v13
	v_fmac_f16_e32 v57, 0xb3a8, v41
	v_mov_b32_e32 v9, v3
	v_mad_co_u64_u32 v[4:5], null, s16, v18, 0
	v_add_f16_e32 v62, v62, v63
	v_fma_f16 v63, v81, 0x3b15, -v86
	v_add_f16_e32 v55, v55, v56
	v_fma_f16 v59, v53, 0xb5ac, -v59
	v_add_co_u32 v17, vcc_lo, v6, v1
	v_lshlrev_b64_e32 v[0:1], 2, v[14:15]
	v_fmac_f16_e32 v115, 0xb3a8, v116
	s_wait_alu 0xfffd
	v_add_co_ci_u32_e32 v19, vcc_lo, v7, v2, vcc_lo
	v_mad_co_u64_u32 v[6:7], null, s16, v20, 0
	v_mov_b32_e32 v2, v5
	v_add_f16_e32 v56, v62, v63
	v_add_f16_e32 v55, v55, v57
	v_fmac_f16_e32 v83, 0x394e, v80
	v_fma_f16 v57, v93, 0x388b, -v98
	v_add_f16_e32 v58, v58, v59
	v_fma_f16 v59, v42, 0xbbc4, -v60
	v_lshlrev_b64_e32 v[8:9], 2, v[8:9]
	v_add_f16_e32 v12, v12, v115
	v_add_co_u32 v0, vcc_lo, v17, v0
	v_mad_co_u64_u32 v[2:3], null, s17, v18, v[2:3]
	v_mov_b32_e32 v3, v7
	v_fma_f16 v45, v93, 0xb5ac, -v45
	v_add_f16_e32 v55, v55, v83
	v_add_f16_e32 v56, v56, v57
	v_fmac_f16_e32 v95, 0x3bf1, v92
	v_add_f16_e32 v57, v58, v59
	v_fma_f16 v58, v81, 0xb9fd, -v84
	s_wait_alu 0xfffd
	v_add_co_ci_u32_e32 v1, vcc_lo, v19, v1, vcc_lo
	v_add_co_u32 v7, vcc_lo, v17, v8
	v_pack_b32_f16 v11, v11, v16
	s_wait_alu 0xfffd
	v_add_co_ci_u32_e32 v8, vcc_lo, v19, v9, vcc_lo
	v_pack_b32_f16 v12, v10, v12
	v_mul_f16_e32 v114, 0x3770, v47
	v_add_f16_e32 v45, v34, v45
	v_fmamk_f16 v34, v116, 0xb770, v110
	v_add_f16_e32 v55, v55, v95
	v_fmac_f16_e32 v110, 0x3770, v116
	v_add_f16_e32 v57, v57, v58
	v_fma_f16 v58, v93, 0x2fb7, -v96
	v_mov_b32_e32 v5, v2
	s_clause 0x1
	global_store_b32 v[0:1], v11, off
	global_store_b32 v[7:8], v12, off
	v_add_nc_u32_e32 v12, 0x30c, v13
	v_add_nc_u32_e32 v11, 0x270, v13
	v_fmac_f16_e32 v101, 0x3770, v92
	v_add_f16_e32 v30, v55, v110
	v_add_f16_e32 v55, v57, v58
	v_fma_f16 v29, v112, 0x3b15, -v114
	v_mad_co_u64_u32 v[9:10], null, s17, v20, v[3:4]
	v_lshlrev_b64_e32 v[0:1], 2, v[4:5]
	v_mad_co_u64_u32 v[2:3], null, s16, v11, 0
	v_mad_co_u64_u32 v[4:5], null, s16, v12, 0
	v_add_f16_e32 v104, v111, v104
	v_mul_f16_e32 v105, 0xb94e, v47
	v_mul_f16_e32 v111, 0x3a95, v47
	v_fmamk_f16 v75, v93, 0x3b15, v113
	v_add_f16_e32 v72, v72, v101
	v_fmamk_f16 v101, v112, 0x3b15, v114
	v_add_f16_e32 v10, v55, v29
	v_add_nc_u32_e32 v15, 0x3a8, v13
	v_add_f16_e32 v75, v104, v75
	v_mul_f16_e32 v104, 0xbb7b, v47
	v_mul_f16_e32 v47, 0x3bf1, v47
	v_fmamk_f16 v38, v112, 0xb9fd, v105
	v_add_f16_e32 v33, v36, v34
	v_add_f16_e32 v34, v35, v101
	v_fmamk_f16 v101, v112, 0x388b, v111
	v_mov_b32_e32 v7, v9
	v_pack_b32_f16 v14, v10, v30
	v_mad_co_u64_u32 v[8:9], null, s16, v15, 0
	v_mad_co_u64_u32 v[10:11], null, s17, v11, v[3:4]
	v_add_f16_e32 v36, v74, v38
	v_add_f16_e32 v38, v77, v101
	v_fmamk_f16 v77, v112, 0x2fb7, v47
	v_fma_f16 v47, v112, 0x2fb7, -v47
	v_fmac_f16_e32 v68, 0x394e, v50
	v_fmac_f16_e32 v85, 0x3770, v80
	v_mov_b32_e32 v3, v10
	v_mad_co_u64_u32 v[9:10], null, s17, v15, v[9:10]
	v_add_f16_e32 v45, v45, v47
	v_add_f16_e32 v47, v67, v68
	v_fmac_f16_e32 v69, 0x3770, v41
	v_fma_f16 v68, v93, 0x3b15, -v113
	v_fma_f16 v70, v53, 0xb9fd, -v71
	v_add_nc_u32_e32 v10, 0x444, v13
	v_lshlrev_b64_e32 v[6:7], 2, v[6:7]
	v_add_f16_e32 v61, v61, v85
	v_fmac_f16_e32 v97, 0xba95, v92
	v_add_f16_e32 v47, v47, v69
	v_add_f16_e32 v68, v90, v68
	v_fma_f16 v69, v112, 0xb5ac, -v104
	v_add_f16_e32 v46, v46, v70
	v_fma_f16 v70, v42, 0x3b15, -v76
	v_fmamk_f16 v117, v116, 0x394e, v107
	v_add_f16_e32 v61, v61, v97
	v_fmac_f16_e32 v107, 0xb94e, v116
	v_fma_f16 v59, v112, 0xb9fd, -v105
	v_mad_co_u64_u32 v[11:12], null, s17, v12, v[5:6]
	v_add_co_u32 v0, vcc_lo, v17, v0
	v_fmac_f16_e32 v87, 0xbbf1, v80
	v_add_f16_e32 v68, v68, v69
	v_add_f16_e32 v46, v46, v70
	v_fma_f16 v69, v81, 0x2fb7, -v88
	v_add_f16_e32 v60, v61, v107
	v_add_f16_e32 v56, v56, v59
	s_wait_alu 0xfffd
	v_add_co_ci_u32_e32 v1, vcc_lo, v19, v1, vcc_lo
	v_add_co_u32 v6, vcc_lo, v17, v6
	v_mov_b32_e32 v5, v11
	v_add_f16_e32 v47, v47, v87
	v_fmac_f16_e32 v99, 0x33a8, v92
	v_add_f16_e32 v46, v46, v69
	v_fma_f16 v69, v93, 0xbbc4, -v100
	s_wait_alu 0xfffd
	v_add_co_ci_u32_e32 v7, vcc_lo, v19, v7, vcc_lo
	v_pack_b32_f16 v12, v56, v60
	global_store_b32 v[0:1], v14, off
	v_lshlrev_b64_e32 v[0:1], 2, v[2:3]
	v_lshlrev_b64_e32 v[2:3], 2, v[4:5]
	v_mad_co_u64_u32 v[4:5], null, s16, v10, 0
	v_add_f16_e32 v35, v73, v117
	v_fmamk_f16 v73, v116, 0x3b7b, v102
	v_fmac_f16_e32 v102, 0xbb7b, v116
	v_add_f16_e32 v47, v47, v99
	v_fmac_f16_e32 v109, 0x3a95, v116
	v_add_f16_e32 v46, v46, v69
	v_fma_f16 v65, v112, 0x388b, -v111
	global_store_b32 v[6:7], v12, off
	v_lshlrev_b64_e32 v[6:7], 2, v[8:9]
	v_add_co_u32 v0, vcc_lo, v17, v0
	s_wait_alu 0xfffd
	v_add_co_ci_u32_e32 v1, vcc_lo, v19, v1, vcc_lo
	v_add_f16_e32 v67, v72, v102
	v_add_f16_e32 v47, v47, v109
	;; [unrolled: 1-line block ×3, first 2 shown]
	v_add_co_u32 v2, vcc_lo, v17, v2
	s_wait_alu 0xfffd
	v_add_co_ci_u32_e32 v3, vcc_lo, v19, v3, vcc_lo
	v_mad_co_u64_u32 v[8:9], null, s17, v10, v[5:6]
	v_add_co_u32 v6, vcc_lo, v17, v6
	v_pack_b32_f16 v11, v46, v47
	v_pack_b32_f16 v9, v68, v67
	s_wait_alu 0xfffd
	v_add_co_ci_u32_e32 v7, vcc_lo, v19, v7, vcc_lo
	v_pack_b32_f16 v10, v45, v44
	global_store_b32 v[0:1], v11, off
	v_dual_mov_b32 v5, v8 :: v_dual_add_nc_u32 v12, 0x618, v13
	global_store_b32 v[2:3], v9, off
	v_add_nc_u32_e32 v8, 0x4e0, v13
	global_store_b32 v[6:7], v10, off
	v_add_nc_u32_e32 v10, 0x57c, v13
	v_lshlrev_b64_e32 v[0:1], 2, v[4:5]
	v_mad_co_u64_u32 v[6:7], null, s16, v12, 0
	v_mad_co_u64_u32 v[2:3], null, s16, v8, 0
	s_delay_alu instid0(VALU_DEP_4) | instskip(SKIP_4) | instid1(VALU_DEP_4)
	v_mad_co_u64_u32 v[4:5], null, s16, v10, 0
	v_fmamk_f16 v74, v112, 0xb5ac, v104
	v_add_nc_u32_e32 v15, 0x6b4, v13
	v_add_f16_e32 v77, v103, v77
	v_add_co_u32 v0, vcc_lo, v17, v0
	v_add_f16_e32 v74, v75, v74
	v_mad_co_u64_u32 v[8:9], null, s17, v8, v[3:4]
	v_mad_co_u64_u32 v[9:10], null, s17, v10, v[5:6]
	v_mov_b32_e32 v5, v7
	v_add_f16_e32 v75, v78, v106
	v_mad_co_u64_u32 v[10:11], null, s16, v15, 0
	v_mov_b32_e32 v3, v8
	s_delay_alu instid0(VALU_DEP_4)
	v_mad_co_u64_u32 v[7:8], null, s17, v12, v[5:6]
	v_add_nc_u32_e32 v12, 0x750, v13
	s_wait_alu 0xfffd
	v_add_co_ci_u32_e32 v1, vcc_lo, v19, v1, vcc_lo
	v_pack_b32_f16 v14, v77, v75
	v_mov_b32_e32 v5, v9
	v_mad_co_u64_u32 v[8:9], null, s16, v12, 0
	v_lshlrev_b64_e32 v[6:7], 2, v[6:7]
	global_store_b32 v[0:1], v14, off
	v_lshlrev_b64_e32 v[0:1], 2, v[2:3]
	v_mov_b32_e32 v2, v11
	v_lshlrev_b64_e32 v[4:5], 2, v[4:5]
	v_add_f16_e32 v73, v89, v73
	s_delay_alu instid0(VALU_DEP_3) | instskip(SKIP_4) | instid1(VALU_DEP_3)
	v_mad_co_u64_u32 v[2:3], null, s17, v15, v[2:3]
	v_mov_b32_e32 v3, v9
	v_add_co_u32 v0, vcc_lo, v17, v0
	s_wait_alu 0xfffd
	v_add_co_ci_u32_e32 v1, vcc_lo, v19, v1, vcc_lo
	v_mad_co_u64_u32 v[12:13], null, s17, v12, v[3:4]
	v_mov_b32_e32 v11, v2
	v_add_co_u32 v2, vcc_lo, v17, v4
	s_wait_alu 0xfffd
	v_add_co_ci_u32_e32 v3, vcc_lo, v19, v5, vcc_lo
	s_delay_alu instid0(VALU_DEP_3) | instskip(SKIP_4) | instid1(VALU_DEP_3)
	v_lshlrev_b64_e32 v[4:5], 2, v[10:11]
	v_mov_b32_e32 v9, v12
	v_add_co_u32 v6, vcc_lo, v17, v6
	s_wait_alu 0xfffd
	v_add_co_ci_u32_e32 v7, vcc_lo, v19, v7, vcc_lo
	v_lshlrev_b64_e32 v[8:9], 2, v[8:9]
	v_add_co_u32 v4, vcc_lo, v17, v4
	v_pack_b32_f16 v14, v74, v73
	v_pack_b32_f16 v13, v38, v37
	s_wait_alu 0xfffd
	v_add_co_ci_u32_e32 v5, vcc_lo, v19, v5, vcc_lo
	v_pack_b32_f16 v10, v36, v35
	v_add_co_u32 v8, vcc_lo, v17, v8
	v_pack_b32_f16 v11, v34, v33
	s_wait_alu 0xfffd
	v_add_co_ci_u32_e32 v9, vcc_lo, v19, v9, vcc_lo
	v_pack_b32_f16 v12, v32, v31
	s_clause 0x4
	global_store_b32 v[0:1], v14, off
	global_store_b32 v[2:3], v13, off
	;; [unrolled: 1-line block ×5, first 2 shown]
.LBB0_23:
	s_nop 0
	s_sendmsg sendmsg(MSG_DEALLOC_VGPRS)
	s_endpgm
	.section	.rodata,"a",@progbits
	.p2align	6, 0x0
	.amdhsa_kernel fft_rtc_fwd_len2028_factors_13_4_3_13_wgs_156_tpt_156_half_op_CI_CI_sbrr_dirReg
		.amdhsa_group_segment_fixed_size 0
		.amdhsa_private_segment_fixed_size 0
		.amdhsa_kernarg_size 104
		.amdhsa_user_sgpr_count 2
		.amdhsa_user_sgpr_dispatch_ptr 0
		.amdhsa_user_sgpr_queue_ptr 0
		.amdhsa_user_sgpr_kernarg_segment_ptr 1
		.amdhsa_user_sgpr_dispatch_id 0
		.amdhsa_user_sgpr_private_segment_size 0
		.amdhsa_wavefront_size32 1
		.amdhsa_uses_dynamic_stack 0
		.amdhsa_enable_private_segment 0
		.amdhsa_system_sgpr_workgroup_id_x 1
		.amdhsa_system_sgpr_workgroup_id_y 0
		.amdhsa_system_sgpr_workgroup_id_z 0
		.amdhsa_system_sgpr_workgroup_info 0
		.amdhsa_system_vgpr_workitem_id 0
		.amdhsa_next_free_vgpr 118
		.amdhsa_next_free_sgpr 43
		.amdhsa_reserve_vcc 1
		.amdhsa_float_round_mode_32 0
		.amdhsa_float_round_mode_16_64 0
		.amdhsa_float_denorm_mode_32 3
		.amdhsa_float_denorm_mode_16_64 3
		.amdhsa_fp16_overflow 0
		.amdhsa_workgroup_processor_mode 1
		.amdhsa_memory_ordered 1
		.amdhsa_forward_progress 0
		.amdhsa_round_robin_scheduling 0
		.amdhsa_exception_fp_ieee_invalid_op 0
		.amdhsa_exception_fp_denorm_src 0
		.amdhsa_exception_fp_ieee_div_zero 0
		.amdhsa_exception_fp_ieee_overflow 0
		.amdhsa_exception_fp_ieee_underflow 0
		.amdhsa_exception_fp_ieee_inexact 0
		.amdhsa_exception_int_div_zero 0
	.end_amdhsa_kernel
	.text
.Lfunc_end0:
	.size	fft_rtc_fwd_len2028_factors_13_4_3_13_wgs_156_tpt_156_half_op_CI_CI_sbrr_dirReg, .Lfunc_end0-fft_rtc_fwd_len2028_factors_13_4_3_13_wgs_156_tpt_156_half_op_CI_CI_sbrr_dirReg
                                        ; -- End function
	.section	.AMDGPU.csdata,"",@progbits
; Kernel info:
; codeLenInByte = 12788
; NumSgprs: 45
; NumVgprs: 118
; ScratchSize: 0
; MemoryBound: 0
; FloatMode: 240
; IeeeMode: 1
; LDSByteSize: 0 bytes/workgroup (compile time only)
; SGPRBlocks: 5
; VGPRBlocks: 14
; NumSGPRsForWavesPerEU: 45
; NumVGPRsForWavesPerEU: 118
; Occupancy: 12
; WaveLimiterHint : 1
; COMPUTE_PGM_RSRC2:SCRATCH_EN: 0
; COMPUTE_PGM_RSRC2:USER_SGPR: 2
; COMPUTE_PGM_RSRC2:TRAP_HANDLER: 0
; COMPUTE_PGM_RSRC2:TGID_X_EN: 1
; COMPUTE_PGM_RSRC2:TGID_Y_EN: 0
; COMPUTE_PGM_RSRC2:TGID_Z_EN: 0
; COMPUTE_PGM_RSRC2:TIDIG_COMP_CNT: 0
	.text
	.p2alignl 7, 3214868480
	.fill 96, 4, 3214868480
	.type	__hip_cuid_f45f64d2bb8da2f4,@object ; @__hip_cuid_f45f64d2bb8da2f4
	.section	.bss,"aw",@nobits
	.globl	__hip_cuid_f45f64d2bb8da2f4
__hip_cuid_f45f64d2bb8da2f4:
	.byte	0                               ; 0x0
	.size	__hip_cuid_f45f64d2bb8da2f4, 1

	.ident	"AMD clang version 19.0.0git (https://github.com/RadeonOpenCompute/llvm-project roc-6.4.0 25133 c7fe45cf4b819c5991fe208aaa96edf142730f1d)"
	.section	".note.GNU-stack","",@progbits
	.addrsig
	.addrsig_sym __hip_cuid_f45f64d2bb8da2f4
	.amdgpu_metadata
---
amdhsa.kernels:
  - .args:
      - .actual_access:  read_only
        .address_space:  global
        .offset:         0
        .size:           8
        .value_kind:     global_buffer
      - .offset:         8
        .size:           8
        .value_kind:     by_value
      - .actual_access:  read_only
        .address_space:  global
        .offset:         16
        .size:           8
        .value_kind:     global_buffer
      - .actual_access:  read_only
        .address_space:  global
        .offset:         24
        .size:           8
        .value_kind:     global_buffer
      - .actual_access:  read_only
        .address_space:  global
        .offset:         32
        .size:           8
        .value_kind:     global_buffer
      - .offset:         40
        .size:           8
        .value_kind:     by_value
      - .actual_access:  read_only
        .address_space:  global
        .offset:         48
        .size:           8
        .value_kind:     global_buffer
      - .actual_access:  read_only
        .address_space:  global
        .offset:         56
        .size:           8
        .value_kind:     global_buffer
      - .offset:         64
        .size:           4
        .value_kind:     by_value
      - .actual_access:  read_only
        .address_space:  global
        .offset:         72
        .size:           8
        .value_kind:     global_buffer
      - .actual_access:  read_only
        .address_space:  global
        .offset:         80
        .size:           8
        .value_kind:     global_buffer
      - .actual_access:  read_only
        .address_space:  global
        .offset:         88
        .size:           8
        .value_kind:     global_buffer
      - .actual_access:  write_only
        .address_space:  global
        .offset:         96
        .size:           8
        .value_kind:     global_buffer
    .group_segment_fixed_size: 0
    .kernarg_segment_align: 8
    .kernarg_segment_size: 104
    .language:       OpenCL C
    .language_version:
      - 2
      - 0
    .max_flat_workgroup_size: 156
    .name:           fft_rtc_fwd_len2028_factors_13_4_3_13_wgs_156_tpt_156_half_op_CI_CI_sbrr_dirReg
    .private_segment_fixed_size: 0
    .sgpr_count:     45
    .sgpr_spill_count: 0
    .symbol:         fft_rtc_fwd_len2028_factors_13_4_3_13_wgs_156_tpt_156_half_op_CI_CI_sbrr_dirReg.kd
    .uniform_work_group_size: 1
    .uses_dynamic_stack: false
    .vgpr_count:     118
    .vgpr_spill_count: 0
    .wavefront_size: 32
    .workgroup_processor_mode: 1
amdhsa.target:   amdgcn-amd-amdhsa--gfx1201
amdhsa.version:
  - 1
  - 2
...

	.end_amdgpu_metadata
